;; amdgpu-corpus repo=ROCm/rocFFT kind=compiled arch=gfx906 opt=O3
	.text
	.amdgcn_target "amdgcn-amd-amdhsa--gfx906"
	.amdhsa_code_object_version 6
	.protected	fft_rtc_fwd_len289_factors_17_17_wgs_119_tpt_17_dp_op_CI_CI_sbrc_xy_z_aligned_dirReg ; -- Begin function fft_rtc_fwd_len289_factors_17_17_wgs_119_tpt_17_dp_op_CI_CI_sbrc_xy_z_aligned_dirReg
	.globl	fft_rtc_fwd_len289_factors_17_17_wgs_119_tpt_17_dp_op_CI_CI_sbrc_xy_z_aligned_dirReg
	.p2align	8
	.type	fft_rtc_fwd_len289_factors_17_17_wgs_119_tpt_17_dp_op_CI_CI_sbrc_xy_z_aligned_dirReg,@function
fft_rtc_fwd_len289_factors_17_17_wgs_119_tpt_17_dp_op_CI_CI_sbrc_xy_z_aligned_dirReg: ; @fft_rtc_fwd_len289_factors_17_17_wgs_119_tpt_17_dp_op_CI_CI_sbrc_xy_z_aligned_dirReg
; %bb.0:
	s_load_dwordx4 s[16:19], s[4:5], 0x10
	s_mov_b32 s7, 0
	s_mov_b32 s25, s7
	s_mov_b64 s[28:29], 0
	s_waitcnt lgkmcnt(0)
	s_load_dwordx4 s[20:23], s[16:17], 0x8
	s_load_dwordx2 s[38:39], s[4:5], 0x0
	s_waitcnt lgkmcnt(0)
	s_add_i32 s0, s22, -1
	s_mul_hi_u32 s1, s0, 0x24924925
	s_sub_i32 s0, s0, s1
	s_lshr_b32 s0, s0, 1
	s_add_i32 s0, s0, s1
	s_lshr_b32 s0, s0, 2
	s_add_i32 s0, s0, 1
	s_mul_i32 s24, s0, s20
	v_cvt_f32_u32_e32 v1, s24
	s_load_dwordx4 s[8:11], s[4:5], 0x58
	s_load_dwordx2 s[22:23], s[4:5], 0x20
	s_load_dwordx4 s[12:15], s[18:19], 0x0
	s_load_dwordx2 s[16:17], s[18:19], 0x10
	s_waitcnt lgkmcnt(0)
	s_load_dwordx4 s[0:3], s[22:23], 0x0
	s_load_dwordx2 s[26:27], s[22:23], 0x10
	v_rcp_iflag_f32_e32 v1, v1
	s_waitcnt lgkmcnt(0)
	s_sub_i32 s3, 0, s24
	v_mul_f32_e32 v1, 0x4f7ffffe, v1
	v_cvt_u32_f32_e32 v3, v1
	v_mov_b32_e32 v1, s20
	v_mov_b32_e32 v2, s21
	v_readfirstlane_b32 s15, v3
	s_mul_i32 s3, s3, s15
	s_mul_hi_u32 s3, s15, s3
	s_add_i32 s15, s15, s3
	s_mul_hi_u32 s3, s6, s15
	s_mul_i32 s15, s3, s24
	s_sub_i32 s15, s6, s15
	s_add_i32 s17, s3, 1
	s_sub_i32 s27, s15, s24
	s_cmp_ge_u32 s15, s24
	s_cselect_b32 s3, s17, s3
	s_cselect_b32 s15, s27, s15
	s_add_i32 s17, s3, 1
	s_cmp_ge_u32 s15, s24
	s_cselect_b32 s27, s17, s3
	s_mul_i32 s3, s27, s24
	s_sub_i32 s24, s6, s3
	v_cmp_lt_u64_e32 vcc, s[24:25], v[1:2]
	v_cvt_f32_u32_e32 v1, s20
	s_cbranch_vccnz .LBB0_2
; %bb.1:
	v_rcp_iflag_f32_e32 v2, v1
	s_sub_i32 s3, 0, s20
	v_mul_f32_e32 v2, 0x4f7ffffe, v2
	v_cvt_u32_f32_e32 v2, v2
	v_readfirstlane_b32 s15, v2
	s_mul_i32 s3, s3, s15
	s_mul_hi_u32 s3, s15, s3
	s_add_i32 s15, s15, s3
	s_mul_hi_u32 s3, s24, s15
	s_mul_i32 s17, s3, s20
	s_sub_i32 s17, s24, s17
	s_add_i32 s15, s3, 1
	s_sub_i32 s24, s17, s20
	s_cmp_ge_u32 s17, s20
	s_cselect_b32 s3, s15, s3
	s_cselect_b32 s17, s24, s17
	s_add_i32 s15, s3, 1
	s_cmp_ge_u32 s17, s20
	s_cselect_b32 s28, s15, s3
.LBB0_2:
	v_mov_b32_e32 v2, s20
	v_mov_b32_e32 v3, s21
	v_cmp_lt_u64_e32 vcc, s[6:7], v[2:3]
	s_cbranch_vccnz .LBB0_4
; %bb.3:
	v_rcp_iflag_f32_e32 v1, v1
	s_sub_i32 s3, 0, s20
	v_mul_f32_e32 v1, 0x4f7ffffe, v1
	v_cvt_u32_f32_e32 v1, v1
	v_readfirstlane_b32 s7, v1
	s_mul_i32 s3, s3, s7
	s_mul_hi_u32 s3, s7, s3
	s_add_i32 s7, s7, s3
	s_mul_hi_u32 s3, s6, s7
	s_mul_i32 s3, s3, s20
	s_sub_i32 s3, s6, s3
	s_sub_i32 s6, s3, s20
	s_cmp_ge_u32 s3, s20
	s_cselect_b32 s3, s6, s3
	s_sub_i32 s6, s3, s20
	s_cmp_ge_u32 s3, s20
	s_cselect_b32 s6, s6, s3
.LBB0_4:
	s_load_dwordx2 s[4:5], s[4:5], 0x8
	s_mul_i32 s3, s28, 7
	s_mul_i32 s7, s6, s14
	;; [unrolled: 1-line block ×3, first 2 shown]
	s_add_i32 s36, s7, s14
	s_waitcnt lgkmcnt(0)
	s_lshl_b64 s[4:5], s[4:5], 3
	s_add_u32 s14, s18, s4
	s_addc_u32 s15, s19, s5
	s_load_dwordx2 s[14:15], s[14:15], 0x0
	v_mad_u64_u32 v[1:2], s[18:19], s12, v0, 0
	s_mov_b32 s37, 0
	v_add_u16_e32 v6, 0x77, v0
	s_waitcnt lgkmcnt(0)
	s_mul_i32 s7, s15, s27
	s_mul_hi_u32 s15, s14, s27
	s_add_i32 s15, s15, s7
	s_add_u32 s4, s22, s4
	s_addc_u32 s5, s23, s5
	s_load_dwordx2 s[4:5], s[4:5], 0x0
	s_mul_i32 s14, s14, s27
	s_lshl_b64 s[14:15], s[14:15], 4
	v_mad_u64_u32 v[2:3], s[18:19], s13, v0, v[2:3]
	s_waitcnt lgkmcnt(0)
	s_mul_i32 s5, s5, s27
	s_mul_hi_u32 s7, s4, s27
	s_add_i32 s5, s7, s5
	s_add_u32 s7, s8, s14
	s_addc_u32 s14, s9, s15
	s_lshl_b64 s[8:9], s[36:37], 4
	s_add_u32 s7, s7, s8
	s_addc_u32 s8, s14, s9
	v_mad_u64_u32 v[3:4], s[14:15], s12, v6, 0
	v_lshlrev_b64 v[1:2], 4, v[1:2]
	v_mov_b32_e32 v5, s8
	v_add_co_u32_e32 v9, vcc, s7, v1
	v_mov_b32_e32 v1, v4
	v_addc_co_u32_e32 v10, vcc, v5, v2, vcc
	v_mad_u64_u32 v[1:2], s[14:15], s13, v6, v[1:2]
	v_add_u16_e32 v2, 0xee, v0
	v_mul_u32_u24_e32 v4, 0xe3, v2
	v_lshrrev_b32_e32 v33, 16, v4
	v_mul_lo_u16_e32 v4, 0x121, v33
	v_sub_u16_e32 v34, v2, v4
	v_mad_u64_u32 v[11:12], s[14:15], s12, v34, 0
	v_mov_b32_e32 v4, v1
	v_lshlrev_b64 v[1:2], 4, v[3:4]
	v_mov_b32_e32 v4, s8
	v_mov_b32_e32 v3, v12
	v_mad_u64_u32 v[12:13], s[14:15], s13, v34, v[3:4]
	v_add_co_u32_e32 v13, vcc, s7, v1
	v_addc_co_u32_e32 v14, vcc, v4, v2, vcc
	global_load_dwordx4 v[5:8], v[9:10], off
	global_load_dwordx4 v[1:4], v[13:14], off
	v_lshlrev_b64 v[9:10], 4, v[11:12]
	v_add_u16_e32 v11, 0x165, v0
	v_mul_u32_u24_e32 v12, 0xe3, v11
	v_lshrrev_b32_e32 v35, 16, v12
	v_mul_lo_u16_e32 v12, 0x121, v35
	v_sub_u16_e32 v36, v11, v12
	v_mad_u64_u32 v[11:12], s[14:15], s12, v36, 0
	v_mul_lo_u32 v69, s16, v33
	v_mov_b32_e32 v13, s8
	v_add_co_u32_e32 v14, vcc, s7, v9
	v_mov_b32_e32 v70, 0
	v_addc_co_u32_e32 v15, vcc, v13, v10, vcc
	v_mad_u64_u32 v[12:13], s[14:15], s13, v36, v[12:13]
	v_lshlrev_b64 v[9:10], 4, v[69:70]
	v_mul_lo_u32 v69, s16, v35
	v_add_co_u32_e32 v17, vcc, v14, v9
	v_addc_co_u32_e32 v18, vcc, v15, v10, vcc
	v_lshlrev_b64 v[9:10], 4, v[11:12]
	v_add_u16_e32 v12, 0x1dc, v0
	v_mul_u32_u24_e32 v13, 0xe3, v12
	v_lshrrev_b32_e32 v37, 16, v13
	v_mul_lo_u16_e32 v13, 0x121, v37
	v_sub_u16_e32 v38, v12, v13
	v_mad_u64_u32 v[19:20], s[14:15], s12, v38, 0
	v_mov_b32_e32 v11, s8
	v_add_co_u32_e32 v12, vcc, s7, v9
	v_addc_co_u32_e32 v13, vcc, v11, v10, vcc
	v_mov_b32_e32 v11, v20
	v_mad_u64_u32 v[20:21], s[14:15], s13, v38, v[11:12]
	v_lshlrev_b64 v[9:10], 4, v[69:70]
	v_mul_lo_u32 v69, s16, v37
	v_add_co_u32_e32 v21, vcc, v12, v9
	v_addc_co_u32_e32 v22, vcc, v13, v10, vcc
	global_load_dwordx4 v[13:16], v[17:18], off
	global_load_dwordx4 v[9:12], v[21:22], off
	v_lshlrev_b64 v[17:18], 4, v[19:20]
	v_add_u16_e32 v19, 0x253, v0
	v_mul_u32_u24_e32 v20, 0xe3, v19
	v_lshrrev_b32_e32 v39, 16, v20
	v_mul_lo_u16_e32 v20, 0x121, v39
	v_sub_u16_e32 v40, v19, v20
	v_mad_u64_u32 v[19:20], s[14:15], s12, v40, 0
	v_mov_b32_e32 v21, s8
	v_add_co_u32_e32 v22, vcc, s7, v17
	v_addc_co_u32_e32 v23, vcc, v21, v18, vcc
	v_mad_u64_u32 v[20:21], s[14:15], s13, v40, v[20:21]
	v_lshlrev_b64 v[17:18], 4, v[69:70]
	v_mul_lo_u32 v69, s16, v39
	v_add_co_u32_e32 v25, vcc, v22, v17
	v_addc_co_u32_e32 v26, vcc, v23, v18, vcc
	v_lshlrev_b64 v[17:18], 4, v[19:20]
	v_add_u16_e32 v20, 0x2ca, v0
	v_mul_u32_u24_e32 v21, 0xe3, v20
	v_lshrrev_b32_e32 v41, 16, v21
	v_mul_lo_u16_e32 v21, 0x121, v41
	v_sub_u16_e32 v42, v20, v21
	v_mad_u64_u32 v[27:28], s[14:15], s12, v42, 0
	v_mov_b32_e32 v19, s8
	v_add_co_u32_e32 v20, vcc, s7, v17
	v_addc_co_u32_e32 v21, vcc, v19, v18, vcc
	v_mov_b32_e32 v19, v28
	v_mad_u64_u32 v[28:29], s[14:15], s13, v42, v[19:20]
	v_lshlrev_b64 v[17:18], 4, v[69:70]
	v_mul_lo_u32 v69, s16, v41
	v_add_co_u32_e32 v29, vcc, v20, v17
	v_addc_co_u32_e32 v30, vcc, v21, v18, vcc
	global_load_dwordx4 v[21:24], v[25:26], off
	global_load_dwordx4 v[17:20], v[29:30], off
	v_lshlrev_b64 v[25:26], 4, v[27:28]
	v_add_u16_e32 v27, 0x341, v0
	v_mul_u32_u24_e32 v28, 0xe3, v27
	v_lshrrev_b32_e32 v43, 16, v28
	v_mul_lo_u16_e32 v28, 0x121, v43
	v_sub_u16_e32 v44, v27, v28
	v_mad_u64_u32 v[27:28], s[14:15], s12, v44, 0
	v_mov_b32_e32 v29, s8
	v_add_co_u32_e32 v30, vcc, s7, v25
	v_addc_co_u32_e32 v31, vcc, v29, v26, vcc
	v_mad_u64_u32 v[28:29], s[14:15], s13, v44, v[28:29]
	v_lshlrev_b64 v[25:26], 4, v[69:70]
	v_mul_lo_u32 v69, s16, v43
	v_add_co_u32_e32 v47, vcc, v30, v25
	v_addc_co_u32_e32 v48, vcc, v31, v26, vcc
	v_lshlrev_b64 v[25:26], 4, v[27:28]
	v_add_u16_e32 v28, 0x3b8, v0
	v_mul_u32_u24_e32 v29, 0x717, v28
	v_lshrrev_b32_e32 v45, 19, v29
	v_mul_lo_u16_e32 v29, 0x121, v45
	v_sub_u16_e32 v46, v28, v29
	v_mad_u64_u32 v[49:50], s[14:15], s12, v46, 0
	v_mov_b32_e32 v27, s8
	v_add_co_u32_e32 v28, vcc, s7, v25
	v_addc_co_u32_e32 v29, vcc, v27, v26, vcc
	v_mov_b32_e32 v27, v50
	v_mad_u64_u32 v[50:51], s[14:15], s13, v46, v[27:28]
	v_lshlrev_b64 v[25:26], 4, v[69:70]
	v_mul_lo_u32 v69, s16, v45
	v_add_co_u32_e32 v51, vcc, v28, v25
	v_addc_co_u32_e32 v52, vcc, v29, v26, vcc
	global_load_dwordx4 v[29:32], v[47:48], off
	global_load_dwordx4 v[25:28], v[51:52], off
	v_lshlrev_b64 v[47:48], 4, v[49:50]
	v_add_u16_e32 v49, 0x42f, v0
	v_mul_u32_u24_e32 v50, 0x717, v49
	v_lshrrev_b32_e32 v87, 19, v50
	v_mul_lo_u16_e32 v50, 0x121, v87
	v_sub_u16_e32 v88, v49, v50
	v_mad_u64_u32 v[49:50], s[14:15], s12, v88, 0
	v_mov_b32_e32 v51, s8
	v_add_co_u32_e32 v52, vcc, s7, v47
	v_addc_co_u32_e32 v53, vcc, v51, v48, vcc
	v_mad_u64_u32 v[50:51], s[14:15], s13, v88, v[50:51]
	v_lshlrev_b64 v[47:48], 4, v[69:70]
	v_mul_lo_u32 v69, s16, v87
	v_add_co_u32_e32 v55, vcc, v52, v47
	v_addc_co_u32_e32 v56, vcc, v53, v48, vcc
	v_lshlrev_b64 v[47:48], 4, v[49:50]
	v_add_u16_e32 v50, 0x4a6, v0
	v_mul_u32_u24_e32 v51, 0x717, v50
	v_lshrrev_b32_e32 v89, 19, v51
	v_mul_lo_u16_e32 v51, 0x121, v89
	v_sub_u16_e32 v90, v50, v51
	v_mad_u64_u32 v[57:58], s[14:15], s12, v90, 0
	v_mov_b32_e32 v49, s8
	v_add_co_u32_e32 v50, vcc, s7, v47
	v_addc_co_u32_e32 v51, vcc, v49, v48, vcc
	v_mov_b32_e32 v49, v58
	v_mad_u64_u32 v[58:59], s[14:15], s13, v90, v[49:50]
	v_lshlrev_b64 v[47:48], 4, v[69:70]
	v_mul_lo_u32 v69, s16, v89
	v_add_co_u32_e32 v59, vcc, v50, v47
	v_addc_co_u32_e32 v60, vcc, v51, v48, vcc
	global_load_dwordx4 v[47:50], v[55:56], off
	global_load_dwordx4 v[51:54], v[59:60], off
	v_lshlrev_b64 v[55:56], 4, v[57:58]
	v_add_u16_e32 v57, 0x51d, v0
	v_mul_u32_u24_e32 v58, 0x717, v57
	v_lshrrev_b32_e32 v91, 19, v58
	v_mul_lo_u16_e32 v58, 0x121, v91
	v_sub_u16_e32 v92, v57, v58
	v_mad_u64_u32 v[57:58], s[14:15], s12, v92, 0
	v_mov_b32_e32 v59, s8
	v_add_co_u32_e32 v60, vcc, s7, v55
	v_addc_co_u32_e32 v61, vcc, v59, v56, vcc
	v_mad_u64_u32 v[58:59], s[14:15], s13, v92, v[58:59]
	v_lshlrev_b64 v[55:56], 4, v[69:70]
	v_mul_lo_u32 v69, s16, v91
	v_add_co_u32_e32 v63, vcc, v60, v55
	v_addc_co_u32_e32 v64, vcc, v61, v56, vcc
	v_lshlrev_b64 v[55:56], 4, v[57:58]
	v_add_u16_e32 v58, 0x594, v0
	v_mul_u32_u24_e32 v59, 0x717, v58
	v_lshrrev_b32_e32 v93, 19, v59
	v_mul_lo_u16_e32 v59, 0x121, v93
	v_sub_u16_e32 v94, v58, v59
	v_mad_u64_u32 v[65:66], s[14:15], s12, v94, 0
	v_mov_b32_e32 v57, s8
	v_add_co_u32_e32 v58, vcc, s7, v55
	v_addc_co_u32_e32 v59, vcc, v57, v56, vcc
	v_mov_b32_e32 v57, v66
	v_mad_u64_u32 v[66:67], s[14:15], s13, v94, v[57:58]
	v_lshlrev_b64 v[55:56], 4, v[69:70]
	v_mul_lo_u32 v69, s16, v93
	v_add_co_u32_e32 v67, vcc, v58, v55
	v_addc_co_u32_e32 v68, vcc, v59, v56, vcc
	global_load_dwordx4 v[55:58], v[63:64], off
	global_load_dwordx4 v[59:62], v[67:68], off
	v_lshlrev_b64 v[63:64], 4, v[65:66]
	v_add_u16_e32 v65, 0x60b, v0
	v_mul_u32_u24_e32 v66, 0x717, v65
	v_lshrrev_b32_e32 v95, 19, v66
	v_mul_lo_u16_e32 v66, 0x121, v95
	v_sub_u16_e32 v96, v65, v66
	v_mad_u64_u32 v[65:66], s[14:15], s12, v96, 0
	v_mov_b32_e32 v67, s8
	v_add_co_u32_e32 v68, vcc, s7, v63
	v_addc_co_u32_e32 v71, vcc, v67, v64, vcc
	v_mad_u64_u32 v[66:67], s[14:15], s13, v96, v[66:67]
	v_lshlrev_b64 v[63:64], 4, v[69:70]
	v_mul_lo_u32 v69, s16, v95
	v_add_co_u32_e32 v67, vcc, v68, v63
	v_addc_co_u32_e32 v68, vcc, v71, v64, vcc
	v_lshlrev_b64 v[63:64], 4, v[65:66]
	v_add_u16_e32 v66, 0x682, v0
	v_mul_u32_u24_e32 v71, 0x717, v66
	v_lshrrev_b32_e32 v97, 19, v71
	v_mul_lo_u16_e32 v71, 0x121, v97
	v_sub_u16_e32 v98, v66, v71
	v_mad_u64_u32 v[75:76], s[14:15], s12, v98, 0
	v_mov_b32_e32 v65, s8
	v_add_co_u32_e32 v66, vcc, s7, v63
	v_addc_co_u32_e32 v71, vcc, v65, v64, vcc
	v_mov_b32_e32 v65, v76
	v_mad_u64_u32 v[76:77], s[14:15], s13, v98, v[65:66]
	v_lshlrev_b64 v[63:64], 4, v[69:70]
	v_mul_lo_u32 v69, s16, v97
	v_add_co_u32_e32 v77, vcc, v66, v63
	v_addc_co_u32_e32 v78, vcc, v71, v64, vcc
	global_load_dwordx4 v[63:66], v[67:68], off
	global_load_dwordx4 v[71:74], v[77:78], off
	v_lshlrev_b64 v[67:68], 4, v[75:76]
	v_add_u16_e32 v75, 0x6f9, v0
	v_mul_u32_u24_e32 v76, 0x717, v75
	v_lshrrev_b32_e32 v99, 19, v76
	v_mul_lo_u16_e32 v76, 0x121, v99
	v_sub_u16_e32 v100, v75, v76
	v_mov_b32_e32 v77, s8
	v_mad_u64_u32 v[75:76], s[14:15], s12, v100, 0
	v_add_co_u32_e32 v78, vcc, s7, v67
	v_addc_co_u32_e32 v79, vcc, v77, v68, vcc
	v_lshlrev_b64 v[67:68], 4, v[69:70]
	v_mov_b32_e32 v69, v76
	v_add_co_u32_e32 v67, vcc, v78, v67
	v_add_u16_e32 v78, 0x770, v0
	v_addc_co_u32_e32 v68, vcc, v79, v68, vcc
	v_mul_u32_u24_e32 v79, 0x717, v78
	v_mad_u64_u32 v[76:77], s[14:15], s13, v100, v[69:70]
	v_lshrrev_b32_e32 v101, 19, v79
	v_mul_lo_u16_e32 v79, 0x121, v101
	v_sub_u16_e32 v102, v78, v79
	v_mul_lo_u32 v69, s16, v99
	v_mad_u64_u32 v[83:84], s[14:15], s12, v102, 0
	v_lshlrev_b64 v[75:76], 4, v[75:76]
	v_mov_b32_e32 v77, s8
	v_add_co_u32_e32 v78, vcc, s7, v75
	v_addc_co_u32_e32 v77, vcc, v77, v76, vcc
	v_lshlrev_b64 v[75:76], 4, v[69:70]
	v_mov_b32_e32 v69, v84
	v_mad_u64_u32 v[84:85], s[12:13], s13, v102, v[69:70]
	v_add_co_u32_e32 v85, vcc, v78, v75
	v_mul_lo_u32 v69, s16, v101
	v_addc_co_u32_e32 v86, vcc, v77, v76, vcc
	global_load_dwordx4 v[75:78], v[67:68], off
	global_load_dwordx4 v[79:82], v[85:86], off
	v_lshlrev_b64 v[67:68], 4, v[83:84]
	v_mov_b32_e32 v83, s8
	v_add_co_u32_e32 v84, vcc, s7, v67
	v_addc_co_u32_e32 v83, vcc, v83, v68, vcc
	v_lshlrev_b64 v[67:68], 4, v[69:70]
	v_mul_u32_u24_e32 v112, 0x2493, v0
	v_add_co_u32_e32 v67, vcc, v84, v67
	v_addc_co_u32_e32 v68, vcc, v83, v68, vcc
	global_load_dwordx4 v[83:86], v[67:68], off
	v_mov_b32_e32 v67, 7
	v_mul_lo_u16_sdwa v67, v112, v67 dst_sel:DWORD dst_unused:UNUSED_PAD src0_sel:WORD_1 src1_sel:DWORD
	v_sub_u16_e32 v69, v0, v67
	v_mul_lo_u16_e32 v67, 7, v0
	v_lshl_add_u32 v67, v67, 4, 0
	s_waitcnt vmcnt(16)
	ds_write_b128 v67, v[5:8]
	v_mov_b32_e32 v5, 0x341
	v_mad_legacy_u16 v5, v0, 7, v5
	v_lshl_add_u32 v5, v5, 4, 0
	s_waitcnt vmcnt(15)
	ds_write_b128 v5, v[1:4]
	v_mad_legacy_u16 v1, v34, 7, v33
	v_lshl_add_u32 v1, v1, 4, 0
	s_waitcnt vmcnt(14)
	ds_write_b128 v1, v[13:16]
	;; [unrolled: 4-line block ×13, first 2 shown]
	v_mad_legacy_u16 v1, v98, 7, v97
	v_lshl_add_u32 v1, v1, 4, 0
	s_movk_i32 s7, 0x70
	v_lshlrev_b32_e32 v113, 4, v69
	s_mov_b32 s34, 0x5d8e7cdc
	s_mov_b32 s35, 0xbfd71e95
	;; [unrolled: 1-line block ×15, first 2 shown]
	s_waitcnt vmcnt(2)
	ds_write_b128 v1, v[75:78]
	v_mad_legacy_u16 v1, v100, 7, v99
	v_lshl_add_u32 v1, v1, 4, 0
	s_waitcnt vmcnt(1)
	ds_write_b128 v1, v[79:82]
	v_mad_legacy_u16 v1, v102, 7, v101
	v_lshl_add_u32 v1, v1, 4, 0
	s_mov_b32 s43, 0xbfefdd0d
	s_mov_b32 s19, 0xbfeec746
	;; [unrolled: 1-line block ×8, first 2 shown]
	s_waitcnt vmcnt(0)
	ds_write_b128 v1, v[83:86]
	v_mul_u32_u24_sdwa v1, v112, s7 dst_sel:DWORD dst_unused:UNUSED_PAD src0_sel:WORD_1 src1_sel:DWORD
	v_add3_u32 v111, 0, v1, v113
	s_waitcnt lgkmcnt(0)
	s_barrier
	ds_read_b128 v[53:56], v111
	ds_read_b128 v[1:4], v111 offset:1904
	ds_read_b128 v[57:60], v111 offset:3808
	;; [unrolled: 1-line block ×7, first 2 shown]
	s_mov_b32 s16, 0xc61f0d01
	s_waitcnt lgkmcnt(6)
	v_add_f64 v[5:6], v[53:54], v[1:2]
	v_add_f64 v[7:8], v[55:56], v[3:4]
	s_mov_b32 s22, 0x6ed5f1bb
	s_mov_b32 s46, 0x7faef3
	s_mov_b32 s15, 0x3fe7a5f6
	s_mov_b32 s13, 0x3fdc86fa
	s_mov_b32 s9, 0x3fb79ee6
	s_mov_b32 s17, 0xbfd183b1
	s_waitcnt lgkmcnt(5)
	v_add_f64 v[5:6], v[5:6], v[57:58]
	v_add_f64 v[7:8], v[7:8], v[59:60]
	s_mov_b32 s23, 0xbfe348c8
	s_mov_b32 s47, 0xbfef7484
	s_mov_b32 s59, 0x3fe0d888
	s_mov_b32 s58, s30
	s_mov_b32 s57, 0x3feec746
	;; [unrolled: 9-line block ×4, first 2 shown]
	s_mov_b32 s62, s42
	s_waitcnt lgkmcnt(2)
	v_add_f64 v[5:6], v[5:6], v[29:30]
	v_add_f64 v[7:8], v[7:8], v[31:32]
	s_movk_i32 s7, 0x770
	v_add_co_u32_e32 v69, vcc, s3, v69
	s_mul_i32 s36, s6, s26
	s_mul_i32 s4, s4, s27
	s_movk_i32 s6, 0x121
	s_waitcnt lgkmcnt(1)
	v_add_f64 v[5:6], v[5:6], v[21:22]
	v_add_f64 v[7:8], v[7:8], v[23:24]
	v_mul_u32_u24_e32 v0, 0x227, v0
	v_mul_lo_u16_sdwa v0, v0, s6 dst_sel:DWORD dst_unused:UNUSED_PAD src0_sel:WORD_1 src1_sel:DWORD
	s_waitcnt lgkmcnt(0)
	v_add_f64 v[17:18], v[5:6], v[13:14]
	v_add_f64 v[19:20], v[7:8], v[15:16]
	ds_read_b128 v[5:8], v111 offset:15232
	ds_read_b128 v[9:12], v111 offset:17136
	s_waitcnt lgkmcnt(1)
	v_add_f64 v[17:18], v[17:18], v[5:6]
	v_add_f64 v[19:20], v[19:20], v[7:8]
	s_waitcnt lgkmcnt(0)
	v_add_f64 v[33:34], v[17:18], v[9:10]
	v_add_f64 v[35:36], v[19:20], v[11:12]
	ds_read_b128 v[17:20], v111 offset:19040
	ds_read_b128 v[25:28], v111 offset:20944
	s_waitcnt lgkmcnt(1)
	v_add_f64 v[33:34], v[33:34], v[17:18]
	v_add_f64 v[35:36], v[35:36], v[19:20]
	s_waitcnt lgkmcnt(0)
	v_add_f64 v[49:50], v[33:34], v[25:26]
	v_add_f64 v[51:52], v[35:36], v[27:28]
	ds_read_b128 v[33:36], v111 offset:22848
	ds_read_b128 v[41:44], v111 offset:24752
	;; [unrolled: 1-line block ×3, first 2 shown]
	s_waitcnt lgkmcnt(1)
	v_add_f64 v[150:151], v[39:40], -v[43:44]
	v_add_f64 v[49:50], v[49:50], v[33:34]
	v_add_f64 v[51:52], v[51:52], v[35:36]
	s_waitcnt lgkmcnt(0)
	v_add_f64 v[75:76], v[3:4], -v[63:64]
	v_add_f64 v[77:78], v[1:2], -v[61:62]
	v_add_f64 v[79:80], v[1:2], v[61:62]
	v_add_f64 v[81:82], v[3:4], v[63:64]
	v_add_f64 v[152:153], v[37:38], -v[41:42]
	v_add_f64 v[71:72], v[49:50], v[41:42]
	v_add_f64 v[73:74], v[51:52], v[43:44]
	ds_read_b128 v[49:52], v111 offset:26656
	ds_read_b128 v[65:68], v111 offset:28560
	v_mul_f64 v[83:84], v[75:76], s[34:35]
	v_mul_f64 v[85:86], v[77:78], s[34:35]
	;; [unrolled: 1-line block ×4, first 2 shown]
	s_waitcnt lgkmcnt(0)
	v_add_f64 v[134:135], v[59:60], -v[67:68]
	v_add_f64 v[71:72], v[71:72], v[49:50]
	v_add_f64 v[73:74], v[73:74], v[51:52]
	v_add_f64 v[136:137], v[57:58], -v[65:66]
	v_mul_f64 v[87:88], v[75:76], s[54:55]
	v_mul_f64 v[89:90], v[77:78], s[54:55]
	;; [unrolled: 1-line block ×5, first 2 shown]
	v_add_f64 v[1:2], v[71:72], v[65:66]
	v_add_f64 v[3:4], v[73:74], v[67:68]
	v_fma_f64 v[71:72], v[79:80], s[20:21], -v[83:84]
	v_fma_f64 v[73:74], v[81:82], s[20:21], v[85:86]
	v_mul_f64 v[105:106], v[77:78], s[18:19]
	v_mul_f64 v[118:119], v[75:76], s[24:25]
	;; [unrolled: 1-line block ×3, first 2 shown]
	v_fma_f64 v[130:131], v[79:80], s[28:29], -v[122:123]
	v_add_f64 v[1:2], v[1:2], v[61:62]
	v_add_f64 v[3:4], v[3:4], v[63:64]
	;; [unrolled: 1-line block ×4, first 2 shown]
	v_fma_f64 v[71:72], v[79:80], s[20:21], v[83:84]
	v_fma_f64 v[73:74], v[81:82], s[20:21], -v[85:86]
	v_mul_f64 v[83:84], v[75:76], s[48:49]
	v_mul_f64 v[85:86], v[77:78], s[48:49]
	v_fma_f64 v[132:133], v[81:82], s[28:29], v[124:125]
	v_fma_f64 v[122:123], v[79:80], s[28:29], v[122:123]
	v_fma_f64 v[124:125], v[81:82], s[28:29], -v[124:125]
	v_mul_f64 v[75:76], v[75:76], s[40:41]
	v_mul_f64 v[77:78], v[77:78], s[40:41]
	v_add_f64 v[57:58], v[57:58], v[65:66]
	v_add_f64 v[59:60], v[59:60], v[67:68]
	v_mul_f64 v[65:66], v[134:135], s[48:49]
	v_mul_f64 v[67:68], v[136:137], s[48:49]
	v_fma_f64 v[91:92], v[79:80], s[14:15], -v[83:84]
	v_fma_f64 v[93:94], v[81:82], s[14:15], v[85:86]
	v_fma_f64 v[83:84], v[79:80], s[14:15], v[83:84]
	v_fma_f64 v[85:86], v[81:82], s[14:15], -v[85:86]
	v_fma_f64 v[95:96], v[79:80], s[12:13], -v[87:88]
	v_fma_f64 v[97:98], v[81:82], s[12:13], v[89:90]
	v_fma_f64 v[87:88], v[79:80], s[12:13], v[87:88]
	v_fma_f64 v[89:90], v[81:82], s[12:13], -v[89:90]
	;; [unrolled: 4-line block ×6, first 2 shown]
	v_add_f64 v[79:80], v[53:54], v[122:123]
	v_add_f64 v[81:82], v[55:56], v[124:125]
	v_fma_f64 v[122:123], v[57:58], s[14:15], -v[65:66]
	v_fma_f64 v[124:125], v[59:60], s[14:15], v[67:68]
	v_add_f64 v[71:72], v[53:54], v[71:72]
	v_add_f64 v[73:74], v[55:56], v[73:74]
	;; [unrolled: 1-line block ×28, first 2 shown]
	v_mul_f64 v[75:76], v[134:135], s[42:43]
	v_mul_f64 v[77:78], v[136:137], s[42:43]
	v_add_f64 v[61:62], v[122:123], v[61:62]
	v_add_f64 v[63:64], v[124:125], v[63:64]
	v_mul_f64 v[122:123], v[134:135], s[24:25]
	v_mul_f64 v[124:125], v[136:137], s[24:25]
	v_fma_f64 v[65:66], v[57:58], s[14:15], v[65:66]
	v_fma_f64 v[67:68], v[59:60], s[14:15], -v[67:68]
	v_fma_f64 v[142:143], v[57:58], s[8:9], -v[75:76]
	v_fma_f64 v[144:145], v[59:60], s[8:9], v[77:78]
	v_fma_f64 v[75:76], v[57:58], s[8:9], v[75:76]
	v_fma_f64 v[77:78], v[59:60], s[8:9], -v[77:78]
	v_fma_f64 v[146:147], v[57:58], s[22:23], -v[122:123]
	v_fma_f64 v[148:149], v[59:60], s[22:23], v[124:125]
	v_add_f64 v[65:66], v[65:66], v[71:72]
	v_add_f64 v[67:68], v[67:68], v[73:74]
	;; [unrolled: 1-line block ×8, first 2 shown]
	v_mul_f64 v[91:92], v[134:135], s[40:41]
	v_mul_f64 v[93:94], v[136:137], s[40:41]
	;; [unrolled: 1-line block ×4, first 2 shown]
	v_fma_f64 v[122:123], v[57:58], s[22:23], v[122:123]
	v_fma_f64 v[124:125], v[59:60], s[22:23], -v[124:125]
	s_barrier
	v_fma_f64 v[142:143], v[57:58], s[46:47], -v[91:92]
	v_fma_f64 v[144:145], v[59:60], s[46:47], v[93:94]
	v_fma_f64 v[91:92], v[57:58], s[46:47], v[91:92]
	v_fma_f64 v[93:94], v[59:60], s[46:47], -v[93:94]
	v_fma_f64 v[146:147], v[57:58], s[28:29], -v[95:96]
	v_fma_f64 v[148:149], v[59:60], s[28:29], v[97:98]
	v_add_f64 v[87:88], v[122:123], v[87:88]
	v_add_f64 v[89:90], v[124:125], v[89:90]
	;; [unrolled: 1-line block ×8, first 2 shown]
	v_mul_f64 v[114:115], v[134:135], s[56:57]
	v_mul_f64 v[116:117], v[136:137], s[56:57]
	;; [unrolled: 1-line block ×4, first 2 shown]
	v_fma_f64 v[95:96], v[57:58], s[28:29], v[95:96]
	v_fma_f64 v[97:98], v[59:60], s[28:29], -v[97:98]
	v_fma_f64 v[142:143], v[57:58], s[16:17], -v[114:115]
	v_fma_f64 v[144:145], v[59:60], s[16:17], v[116:117]
	v_fma_f64 v[114:115], v[57:58], s[16:17], v[114:115]
	v_fma_f64 v[116:117], v[59:60], s[16:17], -v[116:117]
	v_fma_f64 v[146:147], v[57:58], s[12:13], -v[122:123]
	v_fma_f64 v[148:149], v[59:60], s[12:13], v[124:125]
	v_add_f64 v[95:96], v[95:96], v[103:104]
	v_add_f64 v[97:98], v[97:98], v[105:106]
	;; [unrolled: 1-line block ×4, first 2 shown]
	v_add_f64 v[126:127], v[47:48], -v[51:52]
	v_add_f64 v[128:129], v[45:46], -v[49:50]
	v_add_f64 v[114:115], v[114:115], v[118:119]
	v_add_f64 v[116:117], v[116:117], v[120:121]
	;; [unrolled: 1-line block ×4, first 2 shown]
	v_mul_f64 v[130:131], v[134:135], s[50:51]
	v_mul_f64 v[132:133], v[136:137], s[50:51]
	v_add_f64 v[45:46], v[45:46], v[49:50]
	v_add_f64 v[47:48], v[47:48], v[51:52]
	v_mul_f64 v[49:50], v[126:127], s[54:55]
	v_mul_f64 v[51:52], v[128:129], s[54:55]
	v_fma_f64 v[122:123], v[57:58], s[12:13], v[122:123]
	v_fma_f64 v[124:125], v[59:60], s[12:13], -v[124:125]
	v_fma_f64 v[134:135], v[57:58], s[20:21], -v[130:131]
	v_fma_f64 v[136:137], v[59:60], s[20:21], v[132:133]
	v_fma_f64 v[57:58], v[57:58], s[20:21], v[130:131]
	v_fma_f64 v[59:60], v[59:60], s[20:21], -v[132:133]
	v_fma_f64 v[130:131], v[45:46], s[12:13], -v[49:50]
	v_fma_f64 v[132:133], v[47:48], s[12:13], v[51:52]
	v_add_f64 v[79:80], v[122:123], v[79:80]
	v_add_f64 v[81:82], v[124:125], v[81:82]
	;; [unrolled: 1-line block ×8, first 2 shown]
	v_mul_f64 v[61:62], v[126:127], s[24:25]
	v_mul_f64 v[63:64], v[128:129], s[24:25]
	;; [unrolled: 1-line block ×4, first 2 shown]
	v_fma_f64 v[49:50], v[45:46], s[12:13], v[49:50]
	v_fma_f64 v[51:52], v[47:48], s[12:13], -v[51:52]
	v_fma_f64 v[134:135], v[45:46], s[22:23], -v[61:62]
	v_fma_f64 v[136:137], v[47:48], s[22:23], v[63:64]
	v_fma_f64 v[61:62], v[45:46], s[22:23], v[61:62]
	v_fma_f64 v[63:64], v[47:48], s[22:23], -v[63:64]
	v_fma_f64 v[138:139], v[45:46], s[46:47], -v[130:131]
	v_fma_f64 v[140:141], v[47:48], s[46:47], v[132:133]
	v_add_f64 v[49:50], v[49:50], v[65:66]
	v_add_f64 v[51:52], v[51:52], v[67:68]
	;; [unrolled: 1-line block ×6, first 2 shown]
	v_mul_f64 v[75:76], v[126:127], s[56:57]
	v_mul_f64 v[77:78], v[128:129], s[56:57]
	v_add_f64 v[71:72], v[138:139], v[83:84]
	v_add_f64 v[73:74], v[140:141], v[85:86]
	v_fma_f64 v[83:84], v[45:46], s[46:47], v[130:131]
	v_fma_f64 v[85:86], v[47:48], s[46:47], -v[132:133]
	v_mul_f64 v[130:131], v[126:127], s[52:53]
	v_mul_f64 v[132:133], v[128:129], s[52:53]
	v_fma_f64 v[134:135], v[45:46], s[16:17], -v[75:76]
	v_fma_f64 v[136:137], v[47:48], s[16:17], v[77:78]
	v_fma_f64 v[75:76], v[45:46], s[16:17], v[75:76]
	v_fma_f64 v[77:78], v[47:48], s[16:17], -v[77:78]
	v_add_f64 v[87:88], v[83:84], v[87:88]
	v_add_f64 v[89:90], v[85:86], v[89:90]
	v_fma_f64 v[83:84], v[45:46], s[14:15], -v[130:131]
	v_fma_f64 v[85:86], v[47:48], s[14:15], v[132:133]
	v_add_f64 v[134:135], v[134:135], v[107:108]
	v_add_f64 v[136:137], v[136:137], v[109:110]
	;; [unrolled: 1-line block ×4, first 2 shown]
	v_mul_f64 v[75:76], v[126:127], s[34:35]
	v_mul_f64 v[77:78], v[128:129], s[34:35]
	v_add_f64 v[142:143], v[83:84], v[99:100]
	v_add_f64 v[144:145], v[85:86], v[101:102]
	v_mul_f64 v[83:84], v[126:127], s[42:43]
	v_mul_f64 v[85:86], v[128:129], s[42:43]
	v_fma_f64 v[91:92], v[45:46], s[14:15], v[130:131]
	v_fma_f64 v[93:94], v[47:48], s[14:15], -v[132:133]
	v_fma_f64 v[99:100], v[45:46], s[20:21], -v[75:76]
	v_fma_f64 v[101:102], v[47:48], s[20:21], v[77:78]
	v_fma_f64 v[75:76], v[45:46], s[20:21], v[75:76]
	v_fma_f64 v[77:78], v[47:48], s[20:21], -v[77:78]
	v_fma_f64 v[107:108], v[45:46], s[8:9], -v[83:84]
	v_fma_f64 v[109:110], v[47:48], s[8:9], v[85:86]
	v_add_f64 v[130:131], v[91:92], v[95:96]
	v_add_f64 v[132:133], v[93:94], v[97:98]
	;; [unrolled: 1-line block ×6, first 2 shown]
	v_mul_f64 v[75:76], v[126:127], s[30:31]
	v_mul_f64 v[77:78], v[128:129], s[30:31]
	v_add_f64 v[118:119], v[107:108], v[118:119]
	v_add_f64 v[120:121], v[109:110], v[120:121]
	v_fma_f64 v[83:84], v[45:46], s[8:9], v[83:84]
	v_fma_f64 v[85:86], v[47:48], s[8:9], -v[85:86]
	v_mul_f64 v[37:38], v[150:151], s[42:43]
	v_mul_f64 v[39:40], v[152:153], s[42:43]
	v_fma_f64 v[41:42], v[45:46], s[28:29], -v[75:76]
	v_fma_f64 v[43:44], v[47:48], s[28:29], v[77:78]
	v_fma_f64 v[45:46], v[45:46], s[28:29], v[75:76]
	v_fma_f64 v[47:48], v[47:48], s[28:29], -v[77:78]
	v_add_f64 v[146:147], v[99:100], v[103:104]
	v_add_f64 v[148:149], v[101:102], v[105:106]
	v_fma_f64 v[75:76], v[95:96], s[8:9], -v[37:38]
	v_fma_f64 v[77:78], v[97:98], s[8:9], v[39:40]
	v_add_f64 v[107:108], v[41:42], v[122:123]
	v_add_f64 v[109:110], v[43:44], v[124:125]
	v_mul_f64 v[41:42], v[150:151], s[40:41]
	v_mul_f64 v[43:44], v[152:153], s[40:41]
	v_add_f64 v[99:100], v[45:46], v[53:54]
	v_add_f64 v[101:102], v[47:48], v[55:56]
	v_fma_f64 v[37:38], v[95:96], s[8:9], v[37:38]
	v_fma_f64 v[39:40], v[97:98], s[8:9], -v[39:40]
	v_mul_f64 v[45:46], v[150:151], s[56:57]
	v_mul_f64 v[47:48], v[152:153], s[56:57]
	v_fma_f64 v[53:54], v[95:96], s[46:47], -v[41:42]
	v_fma_f64 v[55:56], v[97:98], s[46:47], v[43:44]
	v_fma_f64 v[41:42], v[95:96], s[46:47], v[41:42]
	v_fma_f64 v[43:44], v[97:98], s[46:47], -v[43:44]
	v_add_f64 v[103:104], v[83:84], v[79:80]
	v_add_f64 v[105:106], v[85:86], v[81:82]
	;; [unrolled: 1-line block ×4, first 2 shown]
	v_fma_f64 v[37:38], v[95:96], s[16:17], -v[45:46]
	v_fma_f64 v[39:40], v[97:98], s[16:17], v[47:48]
	v_add_f64 v[61:62], v[41:42], v[61:62]
	v_add_f64 v[63:64], v[43:44], v[63:64]
	v_mul_f64 v[41:42], v[150:151], s[50:51]
	v_mul_f64 v[43:44], v[152:153], s[50:51]
	v_add_f64 v[91:92], v[75:76], v[57:58]
	v_add_f64 v[93:94], v[77:78], v[59:60]
	;; [unrolled: 1-line block ×4, first 2 shown]
	v_mul_f64 v[37:38], v[150:151], s[54:55]
	v_mul_f64 v[39:40], v[152:153], s[54:55]
	v_fma_f64 v[49:50], v[95:96], s[20:21], -v[41:42]
	v_fma_f64 v[51:52], v[97:98], s[20:21], v[43:44]
	v_fma_f64 v[41:42], v[95:96], s[20:21], v[41:42]
	v_fma_f64 v[43:44], v[97:98], s[20:21], -v[43:44]
	v_add_f64 v[79:80], v[53:54], v[65:66]
	v_add_f64 v[81:82], v[55:56], v[67:68]
	v_fma_f64 v[45:46], v[95:96], s[16:17], v[45:46]
	v_fma_f64 v[47:48], v[97:98], s[16:17], -v[47:48]
	v_fma_f64 v[53:54], v[95:96], s[12:13], -v[37:38]
	v_fma_f64 v[55:56], v[97:98], s[12:13], v[39:40]
	v_add_f64 v[57:58], v[41:42], v[138:139]
	v_add_f64 v[59:60], v[43:44], v[140:141]
	v_mul_f64 v[41:42], v[150:151], s[30:31]
	v_mul_f64 v[43:44], v[152:153], s[30:31]
	;; [unrolled: 1-line block ×3, first 2 shown]
	v_add_f64 v[65:66], v[45:46], v[87:88]
	v_add_f64 v[67:68], v[47:48], v[89:90]
	;; [unrolled: 1-line block ×6, first 2 shown]
	v_mul_f64 v[122:123], v[150:151], s[60:61]
	v_fma_f64 v[45:46], v[95:96], s[28:29], -v[41:42]
	v_fma_f64 v[47:48], v[97:98], s[28:29], v[43:44]
	v_fma_f64 v[53:54], v[95:96], s[28:29], v[41:42]
	v_fma_f64 v[55:56], v[97:98], s[28:29], -v[43:44]
	v_fma_f64 v[89:90], v[97:98], s[22:23], v[124:125]
	v_fma_f64 v[37:38], v[95:96], s[12:13], v[37:38]
	v_fma_f64 v[39:40], v[97:98], s[12:13], -v[39:40]
	v_fma_f64 v[87:88], v[95:96], s[22:23], -v[122:123]
	v_add_f64 v[41:42], v[45:46], v[146:147]
	v_add_f64 v[43:44], v[47:48], v[148:149]
	;; [unrolled: 1-line block ×4, first 2 shown]
	v_mul_f64 v[114:115], v[150:151], s[52:53]
	v_add_f64 v[55:56], v[89:90], v[120:121]
	v_add_f64 v[89:90], v[31:32], -v[35:36]
	v_mul_f64 v[116:117], v[152:153], s[52:53]
	v_add_f64 v[53:54], v[87:88], v[118:119]
	v_add_f64 v[87:88], v[29:30], -v[33:34]
	v_fma_f64 v[118:119], v[95:96], s[22:23], v[122:123]
	v_add_f64 v[29:30], v[29:30], v[33:34]
	v_fma_f64 v[122:123], v[95:96], s[14:15], -v[114:115]
	v_fma_f64 v[95:96], v[95:96], s[14:15], v[114:115]
	v_mul_f64 v[33:34], v[89:90], s[18:19]
	v_fma_f64 v[120:121], v[97:98], s[22:23], -v[124:125]
	v_fma_f64 v[124:125], v[97:98], s[14:15], v[116:117]
	v_add_f64 v[31:32], v[31:32], v[35:36]
	v_mul_f64 v[35:36], v[87:88], s[18:19]
	v_fma_f64 v[97:98], v[97:98], s[14:15], -v[116:117]
	v_add_f64 v[103:104], v[118:119], v[103:104]
	v_add_f64 v[95:96], v[95:96], v[99:100]
	v_fma_f64 v[114:115], v[29:30], s[16:17], -v[33:34]
	v_mul_f64 v[99:100], v[89:90], s[58:59]
	v_fma_f64 v[33:34], v[29:30], s[16:17], v[33:34]
	v_add_f64 v[105:106], v[120:121], v[105:106]
	v_fma_f64 v[116:117], v[31:32], s[16:17], v[35:36]
	v_add_f64 v[97:98], v[97:98], v[101:102]
	v_mul_f64 v[101:102], v[87:88], s[58:59]
	v_fma_f64 v[35:36], v[31:32], s[16:17], -v[35:36]
	v_add_f64 v[91:92], v[114:115], v[91:92]
	v_mul_f64 v[114:115], v[89:90], s[52:53]
	v_fma_f64 v[118:119], v[29:30], s[28:29], -v[99:100]
	v_add_f64 v[33:34], v[33:34], v[83:84]
	v_add_f64 v[93:94], v[116:117], v[93:94]
	v_mul_f64 v[116:117], v[87:88], s[52:53]
	v_fma_f64 v[120:121], v[31:32], s[28:29], v[101:102]
	v_fma_f64 v[83:84], v[29:30], s[28:29], v[99:100]
	v_add_f64 v[35:36], v[35:36], v[85:86]
	v_fma_f64 v[99:100], v[29:30], s[14:15], -v[114:115]
	v_add_f64 v[79:80], v[118:119], v[79:80]
	v_mul_f64 v[118:119], v[89:90], s[54:55]
	v_fma_f64 v[85:86], v[31:32], s[28:29], -v[101:102]
	v_fma_f64 v[101:102], v[31:32], s[14:15], v[116:117]
	v_add_f64 v[81:82], v[120:121], v[81:82]
	v_mul_f64 v[120:121], v[87:88], s[54:55]
	v_add_f64 v[61:62], v[83:84], v[61:62]
	v_add_f64 v[75:76], v[99:100], v[75:76]
	v_fma_f64 v[83:84], v[29:30], s[14:15], v[114:115]
	v_fma_f64 v[99:100], v[29:30], s[12:13], -v[118:119]
	v_mul_f64 v[114:115], v[89:90], s[40:41]
	v_add_f64 v[77:78], v[101:102], v[77:78]
	v_fma_f64 v[118:119], v[29:30], s[12:13], v[118:119]
	v_fma_f64 v[101:102], v[31:32], s[12:13], v[120:121]
	v_add_f64 v[37:38], v[37:38], v[130:131]
	v_add_f64 v[63:64], v[85:86], v[63:64]
	;; [unrolled: 1-line block ×4, first 2 shown]
	v_fma_f64 v[83:84], v[29:30], s[46:47], -v[114:115]
	v_mul_f64 v[99:100], v[89:90], s[62:63]
	v_fma_f64 v[85:86], v[31:32], s[14:15], -v[116:117]
	v_mul_f64 v[116:117], v[87:88], s[40:41]
	v_fma_f64 v[120:121], v[31:32], s[12:13], -v[120:121]
	v_add_f64 v[73:74], v[101:102], v[73:74]
	v_add_f64 v[57:58], v[118:119], v[57:58]
	v_mul_f64 v[101:102], v[87:88], s[62:63]
	v_add_f64 v[49:50], v[83:84], v[49:50]
	v_mul_f64 v[83:84], v[89:90], s[34:35]
	v_fma_f64 v[114:115], v[29:30], s[46:47], v[114:115]
	v_fma_f64 v[118:119], v[29:30], s[8:9], -v[99:100]
	v_fma_f64 v[99:100], v[29:30], s[8:9], v[99:100]
	v_mul_f64 v[89:90], v[89:90], s[24:25]
	v_add_f64 v[107:108], v[122:123], v[107:108]
	v_add_f64 v[67:68], v[85:86], v[67:68]
	v_fma_f64 v[85:86], v[31:32], s[46:47], v[116:117]
	v_add_f64 v[59:60], v[120:121], v[59:60]
	v_fma_f64 v[120:121], v[31:32], s[8:9], v[101:102]
	v_fma_f64 v[101:102], v[31:32], s[8:9], -v[101:102]
	v_fma_f64 v[122:123], v[29:30], s[20:21], -v[83:84]
	v_add_f64 v[37:38], v[114:115], v[37:38]
	v_add_f64 v[45:46], v[99:100], v[45:46]
	v_add_f64 v[99:100], v[23:24], -v[27:28]
	v_fma_f64 v[83:84], v[29:30], s[20:21], v[83:84]
	v_fma_f64 v[114:115], v[29:30], s[22:23], -v[89:90]
	v_fma_f64 v[29:30], v[29:30], s[22:23], v[89:90]
	v_add_f64 v[39:40], v[39:40], v[132:133]
	v_add_f64 v[51:52], v[85:86], v[51:52]
	v_mul_f64 v[85:86], v[87:88], s[34:35]
	v_fma_f64 v[116:117], v[31:32], s[46:47], -v[116:117]
	v_add_f64 v[47:48], v[101:102], v[47:48]
	v_add_f64 v[101:102], v[21:22], -v[25:26]
	v_mul_f64 v[87:88], v[87:88], s[24:25]
	v_add_f64 v[21:22], v[21:22], v[25:26]
	v_mul_f64 v[25:26], v[99:100], s[24:25]
	v_add_f64 v[29:30], v[29:30], v[95:96]
	;; [unrolled: 2-line block ×3, first 2 shown]
	v_fma_f64 v[124:125], v[31:32], s[20:21], v[85:86]
	v_add_f64 v[39:40], v[116:117], v[39:40]
	v_fma_f64 v[85:86], v[31:32], s[20:21], -v[85:86]
	v_add_f64 v[23:24], v[23:24], v[27:28]
	v_mul_f64 v[27:28], v[101:102], s[24:25]
	v_fma_f64 v[116:117], v[31:32], s[22:23], v[87:88]
	v_fma_f64 v[31:32], v[31:32], s[22:23], -v[87:88]
	v_add_f64 v[83:84], v[83:84], v[103:104]
	v_fma_f64 v[87:88], v[21:22], s[22:23], -v[25:26]
	v_add_f64 v[103:104], v[114:115], v[107:108]
	v_fma_f64 v[107:108], v[21:22], s[16:17], -v[95:96]
	v_fma_f64 v[25:26], v[21:22], s[22:23], v[25:26]
	v_fma_f64 v[89:90], v[23:24], s[22:23], v[27:28]
	;; [unrolled: 1-line block ×3, first 2 shown]
	v_add_f64 v[31:32], v[31:32], v[97:98]
	v_mul_f64 v[97:98], v[101:102], s[56:57]
	v_add_f64 v[87:88], v[87:88], v[91:92]
	v_mul_f64 v[91:92], v[99:100], s[34:35]
	;; [unrolled: 2-line block ×3, first 2 shown]
	v_add_f64 v[85:86], v[85:86], v[105:106]
	v_add_f64 v[105:106], v[116:117], v[109:110]
	v_add_f64 v[89:90], v[89:90], v[93:94]
	v_fma_f64 v[27:28], v[23:24], s[22:23], -v[27:28]
	v_mul_f64 v[93:94], v[101:102], s[34:35]
	v_fma_f64 v[109:110], v[23:24], s[16:17], v[97:98]
	v_add_f64 v[25:26], v[25:26], v[33:34]
	v_fma_f64 v[33:34], v[21:22], s[20:21], -v[91:92]
	v_add_f64 v[61:62], v[95:96], v[61:62]
	v_fma_f64 v[95:96], v[21:22], s[28:29], -v[79:80]
	v_fma_f64 v[97:98], v[23:24], s[16:17], -v[97:98]
	v_add_f64 v[27:28], v[27:28], v[35:36]
	v_fma_f64 v[35:36], v[23:24], s[20:21], v[93:94]
	v_add_f64 v[109:110], v[109:110], v[81:82]
	v_mul_f64 v[81:82], v[101:102], s[30:31]
	v_add_f64 v[33:34], v[33:34], v[75:76]
	v_fma_f64 v[75:76], v[21:22], s[20:21], v[91:92]
	v_mul_f64 v[91:92], v[99:100], s[62:63]
	v_fma_f64 v[79:80], v[21:22], s[28:29], v[79:80]
	v_add_f64 v[95:96], v[95:96], v[71:72]
	v_mul_f64 v[71:72], v[99:100], s[48:49]
	v_add_f64 v[41:42], v[118:119], v[41:42]
	v_add_f64 v[63:64], v[97:98], v[63:64]
	;; [unrolled: 1-line block ×3, first 2 shown]
	v_fma_f64 v[77:78], v[23:24], s[20:21], -v[93:94]
	v_mul_f64 v[93:94], v[101:102], s[62:63]
	v_fma_f64 v[97:98], v[23:24], s[28:29], v[81:82]
	v_fma_f64 v[81:82], v[23:24], s[28:29], -v[81:82]
	v_add_f64 v[65:66], v[75:76], v[65:66]
	v_fma_f64 v[75:76], v[21:22], s[8:9], -v[91:92]
	v_add_f64 v[57:58], v[79:80], v[57:58]
	v_fma_f64 v[79:80], v[21:22], s[8:9], v[91:92]
	v_fma_f64 v[91:92], v[21:22], s[14:15], -v[71:72]
	v_add_f64 v[67:68], v[77:78], v[67:68]
	v_fma_f64 v[77:78], v[23:24], s[8:9], v[93:94]
	v_add_f64 v[97:98], v[97:98], v[73:74]
	v_add_f64 v[59:60], v[81:82], v[59:60]
	v_mul_f64 v[73:74], v[101:102], s[48:49]
	v_fma_f64 v[81:82], v[23:24], s[8:9], -v[93:94]
	v_add_f64 v[53:54], v[122:123], v[53:54]
	v_add_f64 v[91:92], v[91:92], v[41:42]
	v_mul_f64 v[41:42], v[101:102], s[44:45]
	v_add_f64 v[55:56], v[124:125], v[55:56]
	v_add_f64 v[49:50], v[75:76], v[49:50]
	;; [unrolled: 1-line block ×3, first 2 shown]
	v_mul_f64 v[75:76], v[99:100], s[40:41]
	v_mul_f64 v[77:78], v[101:102], s[40:41]
	v_fma_f64 v[93:94], v[23:24], s[14:15], v[73:74]
	v_fma_f64 v[73:74], v[23:24], s[14:15], -v[73:74]
	v_add_f64 v[118:119], v[81:82], v[39:40]
	v_add_f64 v[122:123], v[15:16], -v[19:20]
	v_add_f64 v[124:125], v[13:14], -v[17:18]
	v_mul_f64 v[39:40], v[99:100], s[44:45]
	v_add_f64 v[99:100], v[15:16], v[19:20]
	v_fma_f64 v[19:20], v[23:24], s[12:13], v[41:42]
	v_add_f64 v[43:44], v[120:121], v[43:44]
	v_fma_f64 v[71:72], v[21:22], s[14:15], v[71:72]
	v_fma_f64 v[116:117], v[23:24], s[46:47], v[77:78]
	v_add_f64 v[120:121], v[73:74], v[47:48]
	v_fma_f64 v[47:48], v[23:24], s[46:47], -v[77:78]
	v_add_f64 v[77:78], v[13:14], v[17:18]
	v_mul_f64 v[13:14], v[122:123], s[30:31]
	v_mul_f64 v[15:16], v[124:125], s[30:31]
	v_fma_f64 v[23:24], v[23:24], s[12:13], -v[41:42]
	v_add_f64 v[105:106], v[19:20], v[105:106]
	v_mul_f64 v[19:20], v[124:125], s[44:45]
	v_fma_f64 v[114:115], v[21:22], s[46:47], -v[75:76]
	v_add_f64 v[43:44], v[93:94], v[43:44]
	v_add_f64 v[93:94], v[71:72], v[45:46]
	v_fma_f64 v[45:46], v[21:22], s[46:47], v[75:76]
	v_fma_f64 v[17:18], v[21:22], s[12:13], -v[39:40]
	v_fma_f64 v[21:22], v[21:22], s[12:13], v[39:40]
	v_add_f64 v[37:38], v[79:80], v[37:38]
	v_fma_f64 v[39:40], v[77:78], s[28:29], -v[13:14]
	v_fma_f64 v[41:42], v[99:100], s[28:29], v[15:16]
	v_add_f64 v[79:80], v[23:24], v[31:32]
	v_fma_f64 v[15:16], v[99:100], s[28:29], -v[15:16]
	v_mul_f64 v[23:24], v[124:125], s[42:43]
	v_fma_f64 v[31:32], v[99:100], s[12:13], v[19:20]
	v_add_f64 v[103:104], v[17:18], v[103:104]
	v_add_f64 v[75:76], v[21:22], v[29:30]
	v_mul_f64 v[17:18], v[122:123], s[44:45]
	v_fma_f64 v[13:14], v[77:78], s[28:29], v[13:14]
	v_mul_f64 v[21:22], v[122:123], s[42:43]
	v_add_f64 v[81:82], v[39:40], v[87:88]
	v_add_f64 v[87:88], v[15:16], v[27:28]
	v_fma_f64 v[27:28], v[99:100], s[8:9], v[23:24]
	v_add_f64 v[15:16], v[31:32], v[109:110]
	v_mul_f64 v[31:32], v[124:125], s[60:61]
	v_add_f64 v[126:127], v[47:48], v[85:86]
	v_fma_f64 v[29:30], v[77:78], s[12:13], -v[17:18]
	v_add_f64 v[85:86], v[13:14], v[25:26]
	v_fma_f64 v[25:26], v[77:78], s[8:9], -v[21:22]
	v_fma_f64 v[23:24], v[99:100], s[8:9], -v[23:24]
	v_add_f64 v[73:74], v[27:28], v[35:36]
	v_mul_f64 v[27:28], v[124:125], s[34:35]
	v_fma_f64 v[35:36], v[99:100], s[22:23], v[31:32]
	v_fma_f64 v[31:32], v[99:100], s[22:23], -v[31:32]
	v_add_f64 v[13:14], v[29:30], v[107:108]
	v_mul_f64 v[29:30], v[122:123], s[60:61]
	v_add_f64 v[71:72], v[25:26], v[33:34]
	v_fma_f64 v[21:22], v[77:78], s[8:9], v[21:22]
	v_mul_f64 v[25:26], v[122:123], s[34:35]
	v_add_f64 v[116:117], v[116:117], v[55:56]
	v_add_f64 v[101:102], v[45:46], v[83:84]
	;; [unrolled: 1-line block ×4, first 2 shown]
	v_fma_f64 v[23:24], v[99:100], s[20:21], v[27:28]
	v_add_f64 v[41:42], v[31:32], v[59:60]
	v_mul_f64 v[31:32], v[124:125], s[40:41]
	v_add_f64 v[114:115], v[114:115], v[53:54]
	v_fma_f64 v[33:34], v[77:78], s[22:23], -v[29:30]
	v_fma_f64 v[29:30], v[77:78], s[22:23], v[29:30]
	v_add_f64 v[53:54], v[21:22], v[65:66]
	v_fma_f64 v[21:22], v[77:78], s[20:21], -v[25:26]
	v_add_f64 v[47:48], v[23:24], v[51:52]
	v_fma_f64 v[23:24], v[99:100], s[20:21], -v[27:28]
	v_fma_f64 v[27:28], v[99:100], s[46:47], v[31:32]
	v_add_f64 v[67:68], v[35:36], v[97:98]
	v_fma_f64 v[31:32], v[99:100], s[46:47], -v[31:32]
	v_add_f64 v[39:40], v[29:30], v[57:58]
	v_mul_f64 v[29:30], v[122:123], s[40:41]
	v_add_f64 v[45:46], v[21:22], v[49:50]
	v_fma_f64 v[21:22], v[77:78], s[20:21], v[25:26]
	v_fma_f64 v[17:18], v[77:78], s[12:13], v[17:18]
	v_add_f64 v[35:36], v[27:28], v[43:44]
	v_add_f64 v[43:44], v[7:8], -v[11:12]
	v_add_f64 v[27:28], v[31:32], v[120:121]
	v_mul_f64 v[89:90], v[122:123], s[18:19]
	v_fma_f64 v[25:26], v[77:78], s[46:47], -v[29:30]
	v_fma_f64 v[29:30], v[77:78], s[46:47], v[29:30]
	v_add_f64 v[49:50], v[21:22], v[37:38]
	v_add_f64 v[37:38], v[5:6], -v[9:10]
	v_add_f64 v[31:32], v[5:6], v[9:10]
	v_mul_f64 v[5:6], v[43:44], s[40:41]
	v_fma_f64 v[19:20], v[99:100], s[12:13], -v[19:20]
	v_add_f64 v[65:66], v[33:34], v[95:96]
	v_add_f64 v[33:34], v[25:26], v[91:92]
	;; [unrolled: 1-line block ×3, first 2 shown]
	v_mul_f64 v[91:92], v[124:125], s[18:19]
	v_add_f64 v[29:30], v[7:8], v[11:12]
	v_mul_f64 v[7:8], v[37:38], s[40:41]
	v_add_f64 v[17:18], v[17:18], v[61:62]
	v_mul_f64 v[57:58], v[122:123], s[52:53]
	v_fma_f64 v[61:62], v[77:78], s[16:17], -v[89:90]
	v_fma_f64 v[9:10], v[77:78], s[16:17], v[89:90]
	v_fma_f64 v[89:90], v[31:32], s[46:47], -v[5:6]
	v_mul_f64 v[95:96], v[37:38], s[50:51]
	v_fma_f64 v[5:6], v[31:32], s[46:47], v[5:6]
	v_add_f64 v[19:20], v[19:20], v[63:64]
	v_fma_f64 v[63:64], v[99:100], s[16:17], v[91:92]
	v_fma_f64 v[11:12], v[99:100], s[16:17], -v[91:92]
	v_fma_f64 v[91:92], v[29:30], s[46:47], v[7:8]
	v_mul_f64 v[93:94], v[43:44], s[50:51]
	v_fma_f64 v[21:22], v[77:78], s[14:15], -v[57:58]
	v_fma_f64 v[57:58], v[77:78], s[14:15], v[57:58]
	v_fma_f64 v[7:8], v[29:30], s[46:47], -v[7:8]
	v_add_f64 v[77:78], v[9:10], v[75:76]
	v_add_f64 v[9:10], v[89:90], v[81:82]
	v_fma_f64 v[81:82], v[29:30], s[20:21], v[95:96]
	v_add_f64 v[5:6], v[5:6], v[85:86]
	v_mul_f64 v[85:86], v[37:38], s[30:31]
	v_add_f64 v[75:76], v[11:12], v[79:80]
	v_add_f64 v[11:12], v[91:92], v[83:84]
	v_fma_f64 v[79:80], v[31:32], s[20:21], -v[93:94]
	v_mul_f64 v[83:84], v[43:44], s[30:31]
	v_add_f64 v[7:8], v[7:8], v[87:88]
	v_fma_f64 v[87:88], v[31:32], s[20:21], v[93:94]
	v_fma_f64 v[89:90], v[29:30], s[20:21], -v[95:96]
	v_add_f64 v[15:16], v[81:82], v[15:16]
	v_mul_f64 v[81:82], v[37:38], s[52:53]
	v_fma_f64 v[93:94], v[29:30], s[28:29], v[85:86]
	v_add_f64 v[13:14], v[79:80], v[13:14]
	v_mul_f64 v[79:80], v[43:44], s[52:53]
	v_fma_f64 v[91:92], v[31:32], s[28:29], -v[83:84]
	v_fma_f64 v[85:86], v[29:30], s[28:29], -v[85:86]
	v_add_f64 v[19:20], v[89:90], v[19:20]
	v_add_f64 v[17:18], v[87:88], v[17:18]
	v_fma_f64 v[89:90], v[29:30], s[14:15], v[81:82]
	v_add_f64 v[73:74], v[93:94], v[73:74]
	v_mul_f64 v[93:94], v[37:38], s[24:25]
	v_fma_f64 v[83:84], v[31:32], s[28:29], v[83:84]
	v_fma_f64 v[87:88], v[31:32], s[14:15], -v[79:80]
	v_add_f64 v[71:72], v[91:92], v[71:72]
	v_mul_f64 v[91:92], v[43:44], s[24:25]
	v_mul_f64 v[59:60], v[124:125], s[52:53]
	v_add_f64 v[55:56], v[85:86], v[55:56]
	v_add_f64 v[67:68], v[89:90], v[67:68]
	v_fma_f64 v[81:82], v[29:30], s[14:15], -v[81:82]
	v_fma_f64 v[85:86], v[29:30], s[22:23], v[93:94]
	v_mul_f64 v[89:90], v[37:38], s[44:45]
	v_add_f64 v[53:54], v[83:84], v[53:54]
	v_add_f64 v[65:66], v[87:88], v[65:66]
	v_fma_f64 v[79:80], v[31:32], s[14:15], v[79:80]
	v_fma_f64 v[83:84], v[31:32], s[22:23], -v[91:92]
	v_mul_f64 v[87:88], v[43:44], s[44:45]
	v_add_f64 v[51:52], v[23:24], v[118:119]
	v_fma_f64 v[23:24], v[99:100], s[14:15], v[59:60]
	v_fma_f64 v[59:60], v[99:100], s[14:15], -v[59:60]
	v_add_f64 v[41:42], v[81:82], v[41:42]
	v_add_f64 v[47:48], v[85:86], v[47:48]
	v_fma_f64 v[81:82], v[29:30], s[12:13], v[89:90]
	v_fma_f64 v[85:86], v[29:30], s[12:13], -v[89:90]
	v_mul_f64 v[89:90], v[37:38], s[18:19]
	v_mul_f64 v[37:38], v[37:38], s[62:63]
	v_add_f64 v[39:40], v[79:80], v[39:40]
	v_add_f64 v[45:46], v[83:84], v[45:46]
	v_fma_f64 v[79:80], v[31:32], s[12:13], -v[87:88]
	v_fma_f64 v[83:84], v[31:32], s[12:13], v[87:88]
	v_mul_f64 v[87:88], v[43:44], s[18:19]
	v_mul_f64 v[43:44], v[43:44], s[62:63]
	v_add_f64 v[59:60], v[59:60], v[126:127]
	v_add_f64 v[63:64], v[63:64], v[105:106]
	v_add_f64 v[35:36], v[81:82], v[35:36]
	v_add_f64 v[27:28], v[85:86], v[27:28]
	v_fma_f64 v[81:82], v[29:30], s[16:17], v[89:90]
	v_fma_f64 v[85:86], v[29:30], s[16:17], -v[89:90]
	v_fma_f64 v[89:90], v[29:30], s[8:9], v[37:38]
	v_fma_f64 v[37:38], v[29:30], s[8:9], -v[37:38]
	v_add_f64 v[21:22], v[21:22], v[114:115]
	v_add_f64 v[23:24], v[23:24], v[116:117]
	;; [unrolled: 1-line block ×3, first 2 shown]
	v_fma_f64 v[79:80], v[31:32], s[16:17], -v[87:88]
	v_add_f64 v[57:58], v[57:58], v[101:102]
	v_add_f64 v[61:62], v[61:62], v[103:104]
	v_fma_f64 v[91:92], v[31:32], s[22:23], v[91:92]
	v_fma_f64 v[93:94], v[29:30], s[22:23], -v[93:94]
	v_add_f64 v[25:26], v[83:84], v[25:26]
	v_fma_f64 v[83:84], v[31:32], s[16:17], v[87:88]
	v_fma_f64 v[87:88], v[31:32], s[8:9], -v[43:44]
	v_fma_f64 v[43:44], v[31:32], s[8:9], v[43:44]
	v_add_f64 v[31:32], v[85:86], v[59:60]
	v_add_f64 v[59:60], v[89:90], v[63:64]
	;; [unrolled: 1-line block ×3, first 2 shown]
	v_mul_u32_u24_sdwa v37, v112, s7 dst_sel:DWORD dst_unused:UNUSED_PAD src0_sel:WORD_1 src1_sel:DWORD
	v_add_f64 v[21:22], v[79:80], v[21:22]
	v_add_f64 v[23:24], v[81:82], v[23:24]
	v_add3_u32 v37, 0, v37, v113
	v_add_f64 v[49:50], v[91:92], v[49:50]
	v_add_f64 v[51:52], v[93:94], v[51:52]
	;; [unrolled: 1-line block ×5, first 2 shown]
	ds_write_b128 v37, v[1:4]
	ds_write_b128 v37, v[9:12] offset:112
	ds_write_b128 v37, v[13:16] offset:224
	;; [unrolled: 1-line block ×16, first 2 shown]
	v_mov_b32_e32 v1, 31
	v_mul_lo_u16_sdwa v1, v112, v1 dst_sel:DWORD dst_unused:UNUSED_PAD src0_sel:WORD_1 src1_sel:DWORD
	v_lshrrev_b16_e32 v1, 9, v1
	v_mul_lo_u16_e32 v1, 17, v1
	v_sub_u16_sdwa v77, v112, v1 dst_sel:DWORD dst_unused:UNUSED_PAD src0_sel:WORD_1 src1_sel:DWORD
	v_mov_b32_e32 v1, 8
	v_lshlrev_b32_sdwa v75, v1, v77 dst_sel:DWORD dst_unused:UNUSED_PAD src0_sel:DWORD src1_sel:BYTE_0
	s_waitcnt lgkmcnt(0)
	s_barrier
	global_load_dwordx4 v[1:4], v75, s[38:39]
	global_load_dwordx4 v[9:12], v75, s[38:39] offset:16
	global_load_dwordx4 v[13:16], v75, s[38:39] offset:32
	;; [unrolled: 1-line block ×9, first 2 shown]
	ds_read_b128 v[31:34], v111 offset:1904
	ds_read_b128 v[5:8], v111
	global_load_dwordx4 v[65:68], v75, s[38:39] offset:160
	global_load_dwordx4 v[71:74], v75, s[38:39] offset:176
	ds_read_b128 v[41:44], v111 offset:3808
	ds_read_b128 v[49:52], v111 offset:5712
	;; [unrolled: 1-line block ×4, first 2 shown]
	v_add_u32_sdwa v0, v77, v0 dst_sel:DWORD dst_unused:UNUSED_PAD src0_sel:BYTE_0 src1_sel:DWORD
	s_waitcnt vmcnt(11) lgkmcnt(5)
	v_mul_f64 v[25:26], v[33:34], v[3:4]
	v_mul_f64 v[3:4], v[31:32], v[3:4]
	s_waitcnt vmcnt(10) lgkmcnt(3)
	v_mul_f64 v[35:36], v[43:44], v[11:12]
	v_mul_f64 v[11:12], v[41:42], v[11:12]
	v_fma_f64 v[94:95], v[31:32], v[1:2], -v[25:26]
	v_fma_f64 v[96:97], v[33:34], v[1:2], v[3:4]
	v_fma_f64 v[53:54], v[41:42], v[9:10], -v[35:36]
	v_fma_f64 v[55:56], v[43:44], v[9:10], v[11:12]
	s_waitcnt vmcnt(9) lgkmcnt(2)
	v_mul_f64 v[9:10], v[51:52], v[15:16]
	global_load_dwordx4 v[1:4], v75, s[38:39] offset:208
	global_load_dwordx4 v[86:89], v75, s[38:39] offset:192
	v_mul_f64 v[15:16], v[49:50], v[15:16]
	s_waitcnt vmcnt(10) lgkmcnt(1)
	v_mul_f64 v[31:32], v[80:81], v[19:20]
	v_add_f64 v[11:12], v[5:6], v[94:95]
	v_add_f64 v[25:26], v[7:8], v[96:97]
	v_mul_f64 v[19:20], v[78:79], v[19:20]
	global_load_dwordx4 v[90:93], v75, s[38:39] offset:240
	v_fma_f64 v[49:50], v[49:50], v[13:14], -v[9:10]
	v_fma_f64 v[51:52], v[51:52], v[13:14], v[15:16]
	v_fma_f64 v[41:42], v[78:79], v[17:18], -v[31:32]
	v_add_f64 v[33:34], v[11:12], v[53:54]
	v_add_f64 v[13:14], v[25:26], v[55:56]
	v_fma_f64 v[43:44], v[80:81], v[17:18], v[19:20]
	global_load_dwordx4 v[78:81], v75, s[38:39] offset:224
	s_waitcnt vmcnt(11) lgkmcnt(0)
	v_mul_f64 v[17:18], v[84:85], v[23:24]
	v_mul_f64 v[23:24], v[82:83], v[23:24]
	ds_read_b128 v[9:12], v111 offset:11424
	v_add_f64 v[19:20], v[33:34], v[49:50]
	v_add_f64 v[25:26], v[13:14], v[51:52]
	ds_read_b128 v[13:16], v111 offset:13328
	s_waitcnt vmcnt(10) lgkmcnt(1)
	v_mul_f64 v[31:32], v[11:12], v[29:30]
	v_mul_f64 v[29:30], v[9:10], v[29:30]
	v_fma_f64 v[33:34], v[82:83], v[21:22], -v[17:18]
	v_fma_f64 v[35:36], v[84:85], v[21:22], v[23:24]
	ds_read_b128 v[21:24], v111 offset:15232
	v_add_f64 v[17:18], v[19:20], v[41:42]
	v_add_f64 v[19:20], v[25:26], v[43:44]
	v_fma_f64 v[25:26], v[9:10], v[27:28], -v[31:32]
	v_fma_f64 v[27:28], v[11:12], v[27:28], v[29:30]
	ds_read_b128 v[29:32], v111 offset:17136
	s_waitcnt vmcnt(9) lgkmcnt(2)
	v_mul_f64 v[9:10], v[15:16], v[39:40]
	v_mul_f64 v[39:40], v[13:14], v[39:40]
	v_add_f64 v[11:12], v[17:18], v[33:34]
	v_add_f64 v[75:76], v[19:20], v[35:36]
	s_waitcnt vmcnt(8) lgkmcnt(1)
	v_mul_f64 v[82:83], v[23:24], v[47:48]
	v_mul_f64 v[47:48], v[21:22], v[47:48]
	v_fma_f64 v[17:18], v[13:14], v[37:38], -v[9:10]
	v_fma_f64 v[19:20], v[15:16], v[37:38], v[39:40]
	v_add_f64 v[13:14], v[11:12], v[25:26]
	v_add_f64 v[15:16], v[75:76], v[27:28]
	v_fma_f64 v[11:12], v[21:22], v[45:46], -v[82:83]
	v_fma_f64 v[9:10], v[23:24], v[45:46], v[47:48]
	s_waitcnt vmcnt(7) lgkmcnt(0)
	v_mul_f64 v[45:46], v[31:32], v[59:60]
	v_mul_f64 v[47:48], v[29:30], v[59:60]
	ds_read_b128 v[21:24], v111 offset:19040
	ds_read_b128 v[37:40], v111 offset:20944
	v_add_f64 v[13:14], v[13:14], v[17:18]
	v_add_f64 v[59:60], v[15:16], v[19:20]
	s_waitcnt vmcnt(6) lgkmcnt(1)
	v_mul_f64 v[75:76], v[23:24], v[63:64]
	v_mul_f64 v[63:64], v[21:22], v[63:64]
	v_fma_f64 v[15:16], v[29:30], v[57:58], -v[45:46]
	v_add_f64 v[29:30], v[13:14], v[11:12]
	v_fma_f64 v[13:14], v[31:32], v[57:58], v[47:48]
	v_add_f64 v[31:32], v[59:60], v[9:10]
	v_fma_f64 v[21:22], v[21:22], v[61:62], -v[75:76]
	s_waitcnt vmcnt(5) lgkmcnt(0)
	v_mul_f64 v[75:76], v[39:40], v[67:68]
	v_fma_f64 v[23:24], v[23:24], v[61:62], v[63:64]
	v_mul_f64 v[61:62], v[37:38], v[67:68]
	ds_read_b128 v[45:48], v111 offset:22848
	ds_read_b128 v[57:60], v111 offset:24752
	v_add_f64 v[63:64], v[29:30], v[15:16]
	v_add_f64 v[67:68], v[31:32], v[13:14]
	v_fma_f64 v[29:30], v[37:38], v[65:66], -v[75:76]
	s_waitcnt vmcnt(4) lgkmcnt(1)
	v_mul_f64 v[37:38], v[47:48], v[73:74]
	v_mul_f64 v[82:83], v[45:46], v[73:74]
	v_fma_f64 v[31:32], v[39:40], v[65:66], v[61:62]
	v_add_f64 v[84:85], v[63:64], v[21:22]
	v_add_f64 v[98:99], v[67:68], v[23:24]
	ds_read_b128 v[61:64], v111 offset:26656
	ds_read_b128 v[65:68], v111 offset:28560
	;; [unrolled: 1-line block ×3, first 2 shown]
	v_fma_f64 v[37:38], v[45:46], v[71:72], -v[37:38]
	v_fma_f64 v[39:40], v[47:48], v[71:72], v[82:83]
	s_waitcnt vmcnt(2) lgkmcnt(3)
	v_mul_f64 v[45:46], v[59:60], v[88:89]
	v_mul_f64 v[47:48], v[57:58], v[88:89]
	v_add_f64 v[71:72], v[84:85], v[29:30]
	v_add_f64 v[82:83], v[98:99], v[31:32]
	s_waitcnt lgkmcnt(2)
	v_mul_f64 v[84:85], v[63:64], v[3:4]
	v_mul_f64 v[3:4], v[61:62], v[3:4]
	s_waitcnt vmcnt(1) lgkmcnt(0)
	v_mul_f64 v[88:89], v[73:74], v[92:93]
	v_mul_f64 v[92:93], v[75:76], v[92:93]
	v_fma_f64 v[45:46], v[57:58], v[86:87], -v[45:46]
	v_fma_f64 v[47:48], v[59:60], v[86:87], v[47:48]
	v_add_f64 v[71:72], v[71:72], v[37:38]
	v_add_f64 v[82:83], v[82:83], v[39:40]
	v_fma_f64 v[57:58], v[61:62], v[1:2], -v[84:85]
	v_fma_f64 v[59:60], v[63:64], v[1:2], v[3:4]
	s_waitcnt vmcnt(0)
	v_mul_f64 v[61:62], v[67:68], v[80:81]
	v_fma_f64 v[1:2], v[73:74], v[90:91], -v[92:93]
	v_mul_f64 v[63:64], v[65:66], v[80:81]
	v_fma_f64 v[3:4], v[75:76], v[90:91], v[88:89]
	v_add_f64 v[71:72], v[71:72], v[45:46]
	v_add_f64 v[73:74], v[82:83], v[47:48]
	v_fma_f64 v[61:62], v[65:66], v[78:79], -v[61:62]
	v_add_f64 v[80:81], v[94:95], -v[1:2]
	v_fma_f64 v[63:64], v[67:68], v[78:79], v[63:64]
	v_add_f64 v[75:76], v[96:97], -v[3:4]
	v_add_f64 v[65:66], v[71:72], v[57:58]
	v_add_f64 v[67:68], v[73:74], v[59:60]
	;; [unrolled: 1-line block ×4, first 2 shown]
	v_add_f64 v[134:135], v[53:54], -v[61:62]
	v_mul_f64 v[82:83], v[80:81], s[34:35]
	v_mul_f64 v[90:91], v[80:81], s[54:55]
	;; [unrolled: 1-line block ×3, first 2 shown]
	v_add_f64 v[65:66], v[65:66], v[61:62]
	v_add_f64 v[67:68], v[67:68], v[63:64]
	v_mul_f64 v[88:89], v[75:76], s[54:55]
	v_mul_f64 v[100:101], v[75:76], s[42:43]
	;; [unrolled: 1-line block ×6, first 2 shown]
	v_add_f64 v[1:2], v[65:66], v[1:2]
	v_add_f64 v[3:4], v[67:68], v[3:4]
	v_mul_f64 v[65:66], v[75:76], s[48:49]
	v_mul_f64 v[67:68], v[80:81], s[48:49]
	;; [unrolled: 1-line block ×5, first 2 shown]
	v_add_f64 v[132:133], v[55:56], -v[63:64]
	v_mul_f64 v[75:76], v[75:76], s[40:41]
	v_mul_f64 v[80:81], v[80:81], s[40:41]
	v_fma_f64 v[84:85], v[71:72], s[20:21], -v[78:79]
	v_fma_f64 v[86:87], v[73:74], s[20:21], v[82:83]
	v_fma_f64 v[78:79], v[71:72], s[20:21], v[78:79]
	v_fma_f64 v[82:83], v[73:74], s[20:21], -v[82:83]
	v_fma_f64 v[92:93], v[71:72], s[14:15], -v[65:66]
	v_fma_f64 v[94:95], v[73:74], s[14:15], v[67:68]
	v_fma_f64 v[65:66], v[71:72], s[14:15], v[65:66]
	v_fma_f64 v[67:68], v[73:74], s[14:15], -v[67:68]
	;; [unrolled: 4-line block ×7, first 2 shown]
	v_add_f64 v[53:54], v[53:54], v[61:62]
	v_add_f64 v[55:56], v[55:56], v[63:64]
	v_mul_f64 v[61:62], v[132:133], s[48:49]
	v_mul_f64 v[63:64], v[134:135], s[48:49]
	v_fma_f64 v[136:137], v[71:72], s[46:47], -v[75:76]
	v_fma_f64 v[138:139], v[73:74], s[46:47], v[80:81]
	v_fma_f64 v[71:72], v[71:72], s[46:47], v[75:76]
	v_fma_f64 v[73:74], v[73:74], s[46:47], -v[80:81]
	v_add_f64 v[84:85], v[5:6], v[84:85]
	v_add_f64 v[86:87], v[7:8], v[86:87]
	;; [unrolled: 1-line block ×28, first 2 shown]
	v_fma_f64 v[120:121], v[53:54], s[14:15], -v[61:62]
	v_fma_f64 v[122:123], v[55:56], s[14:15], v[63:64]
	v_add_f64 v[136:137], v[5:6], v[136:137]
	v_add_f64 v[138:139], v[7:8], v[138:139]
	;; [unrolled: 1-line block ×4, first 2 shown]
	v_mul_f64 v[71:72], v[132:133], s[42:43]
	v_mul_f64 v[73:74], v[134:135], s[42:43]
	v_add_f64 v[84:85], v[120:121], v[84:85]
	v_add_f64 v[86:87], v[122:123], v[86:87]
	v_fma_f64 v[61:62], v[53:54], s[14:15], v[61:62]
	v_fma_f64 v[63:64], v[55:56], s[14:15], -v[63:64]
	v_mul_f64 v[120:121], v[132:133], s[24:25]
	v_mul_f64 v[122:123], v[134:135], s[24:25]
	v_fma_f64 v[140:141], v[53:54], s[8:9], -v[71:72]
	v_fma_f64 v[142:143], v[55:56], s[8:9], v[73:74]
	v_fma_f64 v[71:72], v[53:54], s[8:9], v[71:72]
	v_fma_f64 v[73:74], v[55:56], s[8:9], -v[73:74]
	v_add_f64 v[61:62], v[61:62], v[78:79]
	v_add_f64 v[63:64], v[63:64], v[82:83]
	v_fma_f64 v[78:79], v[53:54], s[22:23], -v[120:121]
	v_fma_f64 v[82:83], v[55:56], s[22:23], v[122:123]
	v_add_f64 v[92:93], v[140:141], v[92:93]
	v_add_f64 v[94:95], v[142:143], v[94:95]
	;; [unrolled: 1-line block ×4, first 2 shown]
	v_mul_f64 v[71:72], v[132:133], s[40:41]
	v_mul_f64 v[73:74], v[134:135], s[40:41]
	v_add_f64 v[78:79], v[78:79], v[96:97]
	v_add_f64 v[82:83], v[82:83], v[98:99]
	v_fma_f64 v[96:97], v[53:54], s[22:23], v[120:121]
	v_fma_f64 v[98:99], v[55:56], s[22:23], -v[122:123]
	v_mul_f64 v[120:121], v[132:133], s[58:59]
	v_mul_f64 v[122:123], v[134:135], s[58:59]
	v_fma_f64 v[140:141], v[53:54], s[46:47], -v[71:72]
	v_fma_f64 v[142:143], v[55:56], s[46:47], v[73:74]
	v_fma_f64 v[71:72], v[53:54], s[46:47], v[71:72]
	v_fma_f64 v[73:74], v[55:56], s[46:47], -v[73:74]
	v_add_f64 v[88:89], v[96:97], v[88:89]
	v_add_f64 v[90:91], v[98:99], v[90:91]
	v_fma_f64 v[96:97], v[53:54], s[28:29], -v[120:121]
	v_fma_f64 v[98:99], v[55:56], s[28:29], v[122:123]
	v_add_f64 v[108:109], v[140:141], v[108:109]
	v_add_f64 v[110:111], v[142:143], v[110:111]
	;; [unrolled: 1-line block ×4, first 2 shown]
	v_mul_f64 v[100:101], v[132:133], s[56:57]
	v_mul_f64 v[102:103], v[134:135], s[56:57]
	v_add_f64 v[96:97], v[96:97], v[112:113]
	v_add_f64 v[98:99], v[98:99], v[114:115]
	v_mul_f64 v[112:113], v[132:133], s[44:45]
	v_mul_f64 v[114:115], v[134:135], s[44:45]
	v_fma_f64 v[120:121], v[53:54], s[28:29], v[120:121]
	v_fma_f64 v[122:123], v[55:56], s[28:29], -v[122:123]
	v_fma_f64 v[140:141], v[53:54], s[16:17], -v[100:101]
	v_fma_f64 v[142:143], v[55:56], s[16:17], v[102:103]
	v_fma_f64 v[100:101], v[53:54], s[16:17], v[100:101]
	v_fma_f64 v[102:103], v[55:56], s[16:17], -v[102:103]
	v_fma_f64 v[144:145], v[53:54], s[12:13], -v[112:113]
	v_fma_f64 v[146:147], v[55:56], s[12:13], v[114:115]
	v_add_f64 v[104:105], v[120:121], v[104:105]
	v_add_f64 v[106:107], v[122:123], v[106:107]
	;; [unrolled: 1-line block ×4, first 2 shown]
	v_add_f64 v[124:125], v[51:52], -v[59:60]
	v_add_f64 v[126:127], v[49:50], -v[57:58]
	v_add_f64 v[100:101], v[100:101], v[116:117]
	v_add_f64 v[102:103], v[102:103], v[118:119]
	;; [unrolled: 1-line block ×4, first 2 shown]
	v_mul_f64 v[128:129], v[132:133], s[50:51]
	v_mul_f64 v[130:131], v[134:135], s[50:51]
	v_fma_f64 v[112:113], v[53:54], s[12:13], v[112:113]
	v_fma_f64 v[114:115], v[55:56], s[12:13], -v[114:115]
	v_add_f64 v[49:50], v[49:50], v[57:58]
	v_add_f64 v[51:52], v[51:52], v[59:60]
	v_mul_f64 v[57:58], v[124:125], s[54:55]
	v_mul_f64 v[59:60], v[126:127], s[54:55]
	v_fma_f64 v[132:133], v[53:54], s[20:21], -v[128:129]
	v_fma_f64 v[134:135], v[55:56], s[20:21], v[130:131]
	v_fma_f64 v[53:54], v[53:54], s[20:21], v[128:129]
	v_fma_f64 v[55:56], v[55:56], s[20:21], -v[130:131]
	v_add_f64 v[75:76], v[112:113], v[75:76]
	v_add_f64 v[80:81], v[114:115], v[80:81]
	v_fma_f64 v[112:113], v[49:50], s[12:13], -v[57:58]
	v_fma_f64 v[114:115], v[51:52], s[12:13], v[59:60]
	v_fma_f64 v[57:58], v[49:50], s[12:13], v[57:58]
	v_fma_f64 v[59:60], v[51:52], s[12:13], -v[59:60]
	v_add_f64 v[5:6], v[53:54], v[5:6]
	v_add_f64 v[7:8], v[55:56], v[7:8]
	v_mul_f64 v[53:54], v[124:125], s[24:25]
	v_mul_f64 v[55:56], v[126:127], s[24:25]
	v_add_f64 v[84:85], v[112:113], v[84:85]
	v_add_f64 v[86:87], v[114:115], v[86:87]
	v_mul_f64 v[112:113], v[124:125], s[64:65]
	v_mul_f64 v[114:115], v[126:127], s[64:65]
	v_add_f64 v[128:129], v[132:133], v[136:137]
	v_add_f64 v[130:131], v[134:135], v[138:139]
	v_fma_f64 v[132:133], v[49:50], s[22:23], -v[53:54]
	v_fma_f64 v[134:135], v[51:52], s[22:23], v[55:56]
	v_fma_f64 v[53:54], v[49:50], s[22:23], v[53:54]
	v_fma_f64 v[55:56], v[51:52], s[22:23], -v[55:56]
	v_add_f64 v[57:58], v[57:58], v[61:62]
	v_add_f64 v[59:60], v[59:60], v[63:64]
	v_fma_f64 v[61:62], v[49:50], s[46:47], -v[112:113]
	v_fma_f64 v[63:64], v[51:52], s[46:47], v[114:115]
	v_add_f64 v[92:93], v[132:133], v[92:93]
	v_add_f64 v[94:95], v[134:135], v[94:95]
	;; [unrolled: 1-line block ×4, first 2 shown]
	v_mul_f64 v[65:66], v[124:125], s[56:57]
	v_mul_f64 v[67:68], v[126:127], s[56:57]
	v_add_f64 v[61:62], v[61:62], v[78:79]
	v_add_f64 v[63:64], v[63:64], v[82:83]
	v_fma_f64 v[78:79], v[49:50], s[46:47], v[112:113]
	v_fma_f64 v[82:83], v[51:52], s[46:47], -v[114:115]
	v_mul_f64 v[112:113], v[124:125], s[52:53]
	v_mul_f64 v[114:115], v[126:127], s[52:53]
	v_fma_f64 v[132:133], v[49:50], s[16:17], -v[65:66]
	v_fma_f64 v[134:135], v[51:52], s[16:17], v[67:68]
	v_fma_f64 v[65:66], v[49:50], s[16:17], v[65:66]
	v_fma_f64 v[67:68], v[51:52], s[16:17], -v[67:68]
	v_add_f64 v[78:79], v[78:79], v[88:89]
	v_add_f64 v[82:83], v[82:83], v[90:91]
	v_fma_f64 v[88:89], v[49:50], s[14:15], -v[112:113]
	v_fma_f64 v[90:91], v[51:52], s[14:15], v[114:115]
	v_add_f64 v[108:109], v[132:133], v[108:109]
	v_add_f64 v[110:111], v[134:135], v[110:111]
	;; [unrolled: 1-line block ×4, first 2 shown]
	v_mul_f64 v[71:72], v[124:125], s[34:35]
	v_mul_f64 v[73:74], v[126:127], s[34:35]
	v_add_f64 v[88:89], v[88:89], v[96:97]
	v_add_f64 v[90:91], v[90:91], v[98:99]
	v_mul_f64 v[96:97], v[124:125], s[42:43]
	v_mul_f64 v[98:99], v[126:127], s[42:43]
	v_fma_f64 v[112:113], v[49:50], s[14:15], v[112:113]
	v_fma_f64 v[114:115], v[51:52], s[14:15], -v[114:115]
	v_fma_f64 v[132:133], v[49:50], s[20:21], -v[71:72]
	v_fma_f64 v[134:135], v[51:52], s[20:21], v[73:74]
	v_fma_f64 v[71:72], v[49:50], s[20:21], v[71:72]
	v_fma_f64 v[73:74], v[51:52], s[20:21], -v[73:74]
	v_fma_f64 v[136:137], v[49:50], s[8:9], -v[96:97]
	v_fma_f64 v[138:139], v[51:52], s[8:9], v[98:99]
	v_add_f64 v[104:105], v[112:113], v[104:105]
	v_add_f64 v[106:107], v[114:115], v[106:107]
	;; [unrolled: 1-line block ×8, first 2 shown]
	v_add_f64 v[116:117], v[43:44], -v[47:48]
	v_add_f64 v[118:119], v[41:42], -v[45:46]
	v_mul_f64 v[120:121], v[124:125], s[30:31]
	v_mul_f64 v[122:123], v[126:127], s[30:31]
	v_fma_f64 v[96:97], v[49:50], s[8:9], v[96:97]
	v_fma_f64 v[98:99], v[51:52], s[8:9], -v[98:99]
	v_add_f64 v[41:42], v[41:42], v[45:46]
	v_add_f64 v[43:44], v[43:44], v[47:48]
	v_mul_f64 v[45:46], v[116:117], s[42:43]
	v_mul_f64 v[47:48], v[118:119], s[42:43]
	v_fma_f64 v[124:125], v[49:50], s[28:29], -v[120:121]
	v_fma_f64 v[126:127], v[51:52], s[28:29], v[122:123]
	v_fma_f64 v[49:50], v[49:50], s[28:29], v[120:121]
	v_fma_f64 v[51:52], v[51:52], s[28:29], -v[122:123]
	v_add_f64 v[75:76], v[96:97], v[75:76]
	v_add_f64 v[80:81], v[98:99], v[80:81]
	v_fma_f64 v[96:97], v[41:42], s[8:9], -v[45:46]
	v_fma_f64 v[98:99], v[43:44], s[8:9], v[47:48]
	v_fma_f64 v[45:46], v[41:42], s[8:9], v[45:46]
	v_fma_f64 v[47:48], v[43:44], s[8:9], -v[47:48]
	v_add_f64 v[5:6], v[49:50], v[5:6]
	v_add_f64 v[7:8], v[51:52], v[7:8]
	v_mul_f64 v[49:50], v[116:117], s[40:41]
	v_mul_f64 v[51:52], v[118:119], s[40:41]
	v_add_f64 v[84:85], v[96:97], v[84:85]
	v_add_f64 v[86:87], v[98:99], v[86:87]
	v_mul_f64 v[96:97], v[116:117], s[56:57]
	v_mul_f64 v[98:99], v[118:119], s[56:57]
	v_add_f64 v[120:121], v[124:125], v[128:129]
	v_add_f64 v[122:123], v[126:127], v[130:131]
	v_fma_f64 v[124:125], v[41:42], s[46:47], -v[49:50]
	v_fma_f64 v[126:127], v[43:44], s[46:47], v[51:52]
	v_fma_f64 v[49:50], v[41:42], s[46:47], v[49:50]
	v_fma_f64 v[51:52], v[43:44], s[46:47], -v[51:52]
	v_add_f64 v[45:46], v[45:46], v[57:58]
	v_add_f64 v[47:48], v[47:48], v[59:60]
	v_fma_f64 v[57:58], v[41:42], s[16:17], -v[96:97]
	v_fma_f64 v[59:60], v[43:44], s[16:17], v[98:99]
	v_add_f64 v[92:93], v[124:125], v[92:93]
	v_add_f64 v[94:95], v[126:127], v[94:95]
	;; [unrolled: 1-line block ×4, first 2 shown]
	v_mul_f64 v[53:54], v[116:117], s[50:51]
	v_mul_f64 v[55:56], v[118:119], s[50:51]
	v_add_f64 v[57:58], v[57:58], v[61:62]
	v_add_f64 v[59:60], v[59:60], v[63:64]
	v_fma_f64 v[61:62], v[41:42], s[16:17], v[96:97]
	v_fma_f64 v[63:64], v[43:44], s[16:17], -v[98:99]
	v_mul_f64 v[96:97], v[116:117], s[54:55]
	v_mul_f64 v[98:99], v[118:119], s[54:55]
	v_fma_f64 v[124:125], v[41:42], s[20:21], -v[53:54]
	v_fma_f64 v[126:127], v[43:44], s[20:21], v[55:56]
	v_fma_f64 v[53:54], v[41:42], s[20:21], v[53:54]
	v_fma_f64 v[55:56], v[43:44], s[20:21], -v[55:56]
	v_add_f64 v[61:62], v[61:62], v[78:79]
	v_add_f64 v[63:64], v[63:64], v[82:83]
	v_fma_f64 v[78:79], v[41:42], s[12:13], -v[96:97]
	v_fma_f64 v[82:83], v[43:44], s[12:13], v[98:99]
	v_add_f64 v[108:109], v[124:125], v[108:109]
	v_add_f64 v[110:111], v[126:127], v[110:111]
	;; [unrolled: 1-line block ×4, first 2 shown]
	v_mul_f64 v[65:66], v[116:117], s[30:31]
	v_mul_f64 v[67:68], v[118:119], s[30:31]
	v_add_f64 v[78:79], v[78:79], v[88:89]
	v_add_f64 v[82:83], v[82:83], v[90:91]
	v_mul_f64 v[88:89], v[116:117], s[60:61]
	v_mul_f64 v[90:91], v[118:119], s[60:61]
	v_fma_f64 v[96:97], v[41:42], s[12:13], v[96:97]
	v_fma_f64 v[98:99], v[43:44], s[12:13], -v[98:99]
	v_fma_f64 v[124:125], v[41:42], s[28:29], -v[65:66]
	v_fma_f64 v[126:127], v[43:44], s[28:29], v[67:68]
	v_fma_f64 v[65:66], v[41:42], s[28:29], v[65:66]
	v_fma_f64 v[67:68], v[43:44], s[28:29], -v[67:68]
	v_fma_f64 v[128:129], v[41:42], s[22:23], -v[88:89]
	v_fma_f64 v[130:131], v[43:44], s[22:23], v[90:91]
	v_add_f64 v[96:97], v[96:97], v[104:105]
	v_add_f64 v[98:99], v[98:99], v[106:107]
	;; [unrolled: 1-line block ×8, first 2 shown]
	v_add_f64 v[100:101], v[35:36], -v[39:40]
	v_add_f64 v[102:103], v[33:34], -v[37:38]
	v_mul_f64 v[112:113], v[116:117], s[52:53]
	v_mul_f64 v[114:115], v[118:119], s[52:53]
	v_fma_f64 v[88:89], v[41:42], s[22:23], v[88:89]
	v_fma_f64 v[90:91], v[43:44], s[22:23], -v[90:91]
	v_add_f64 v[33:34], v[33:34], v[37:38]
	v_add_f64 v[35:36], v[35:36], v[39:40]
	v_mul_f64 v[37:38], v[100:101], s[18:19]
	v_mul_f64 v[39:40], v[102:103], s[18:19]
	v_fma_f64 v[116:117], v[41:42], s[14:15], -v[112:113]
	v_fma_f64 v[118:119], v[43:44], s[14:15], v[114:115]
	v_fma_f64 v[41:42], v[41:42], s[14:15], v[112:113]
	v_fma_f64 v[43:44], v[43:44], s[14:15], -v[114:115]
	v_add_f64 v[75:76], v[88:89], v[75:76]
	v_add_f64 v[80:81], v[90:91], v[80:81]
	v_fma_f64 v[88:89], v[33:34], s[16:17], -v[37:38]
	v_fma_f64 v[90:91], v[35:36], s[16:17], v[39:40]
	v_fma_f64 v[37:38], v[33:34], s[16:17], v[37:38]
	v_fma_f64 v[39:40], v[35:36], s[16:17], -v[39:40]
	v_add_f64 v[5:6], v[41:42], v[5:6]
	v_add_f64 v[7:8], v[43:44], v[7:8]
	v_mul_f64 v[41:42], v[100:101], s[58:59]
	v_mul_f64 v[43:44], v[102:103], s[58:59]
	v_add_f64 v[84:85], v[88:89], v[84:85]
	v_add_f64 v[86:87], v[90:91], v[86:87]
	v_mul_f64 v[88:89], v[100:101], s[52:53]
	v_mul_f64 v[90:91], v[102:103], s[52:53]
	v_add_f64 v[112:113], v[116:117], v[120:121]
	v_add_f64 v[114:115], v[118:119], v[122:123]
	v_fma_f64 v[116:117], v[33:34], s[28:29], -v[41:42]
	v_fma_f64 v[118:119], v[35:36], s[28:29], v[43:44]
	v_fma_f64 v[41:42], v[33:34], s[28:29], v[41:42]
	v_fma_f64 v[43:44], v[35:36], s[28:29], -v[43:44]
	v_add_f64 v[37:38], v[37:38], v[45:46]
	v_add_f64 v[39:40], v[39:40], v[47:48]
	v_fma_f64 v[45:46], v[33:34], s[14:15], -v[88:89]
	v_fma_f64 v[47:48], v[35:36], s[14:15], v[90:91]
	v_add_f64 v[92:93], v[116:117], v[92:93]
	v_add_f64 v[94:95], v[118:119], v[94:95]
	;; [unrolled: 1-line block ×4, first 2 shown]
	v_mul_f64 v[49:50], v[100:101], s[54:55]
	v_mul_f64 v[51:52], v[102:103], s[54:55]
	v_add_f64 v[45:46], v[45:46], v[57:58]
	v_add_f64 v[47:48], v[47:48], v[59:60]
	v_fma_f64 v[57:58], v[33:34], s[14:15], v[88:89]
	v_fma_f64 v[59:60], v[35:36], s[14:15], -v[90:91]
	v_mul_f64 v[88:89], v[100:101], s[40:41]
	v_mul_f64 v[90:91], v[102:103], s[40:41]
	v_fma_f64 v[116:117], v[33:34], s[12:13], -v[49:50]
	v_fma_f64 v[118:119], v[35:36], s[12:13], v[51:52]
	v_fma_f64 v[49:50], v[33:34], s[12:13], v[49:50]
	v_fma_f64 v[51:52], v[35:36], s[12:13], -v[51:52]
	v_add_f64 v[57:58], v[57:58], v[61:62]
	v_add_f64 v[59:60], v[59:60], v[63:64]
	v_fma_f64 v[61:62], v[33:34], s[46:47], -v[88:89]
	v_fma_f64 v[63:64], v[35:36], s[46:47], v[90:91]
	v_add_f64 v[108:109], v[116:117], v[108:109]
	v_add_f64 v[110:111], v[118:119], v[110:111]
	;; [unrolled: 1-line block ×4, first 2 shown]
	v_mul_f64 v[53:54], v[100:101], s[62:63]
	v_mul_f64 v[55:56], v[102:103], s[62:63]
	v_add_f64 v[61:62], v[61:62], v[78:79]
	v_add_f64 v[63:64], v[63:64], v[82:83]
	v_mul_f64 v[78:79], v[100:101], s[34:35]
	v_mul_f64 v[82:83], v[102:103], s[34:35]
	v_fma_f64 v[88:89], v[33:34], s[46:47], v[88:89]
	v_fma_f64 v[90:91], v[35:36], s[46:47], -v[90:91]
	v_fma_f64 v[116:117], v[33:34], s[8:9], -v[53:54]
	v_fma_f64 v[118:119], v[35:36], s[8:9], v[55:56]
	v_fma_f64 v[53:54], v[33:34], s[8:9], v[53:54]
	v_fma_f64 v[55:56], v[35:36], s[8:9], -v[55:56]
	v_fma_f64 v[120:121], v[33:34], s[20:21], -v[78:79]
	v_fma_f64 v[122:123], v[35:36], s[20:21], v[82:83]
	v_mul_f64 v[100:101], v[100:101], s[24:25]
	v_mul_f64 v[102:103], v[102:103], s[24:25]
	v_fma_f64 v[78:79], v[33:34], s[20:21], v[78:79]
	v_fma_f64 v[82:83], v[35:36], s[20:21], -v[82:83]
	v_add_f64 v[53:54], v[53:54], v[65:66]
	v_add_f64 v[55:56], v[55:56], v[67:68]
	v_add_f64 v[65:66], v[120:121], v[71:72]
	v_add_f64 v[67:68], v[122:123], v[73:74]
	v_add_f64 v[71:72], v[27:28], -v[31:32]
	v_add_f64 v[73:74], v[25:26], -v[29:30]
	v_add_f64 v[25:26], v[25:26], v[29:30]
	v_add_f64 v[27:28], v[27:28], v[31:32]
	;; [unrolled: 1-line block ×6, first 2 shown]
	v_mul_f64 v[29:30], v[71:72], s[24:25]
	v_mul_f64 v[31:32], v[73:74], s[24:25]
	v_fma_f64 v[104:105], v[33:34], s[22:23], -v[100:101]
	v_fma_f64 v[106:107], v[35:36], s[22:23], v[102:103]
	v_fma_f64 v[33:34], v[33:34], s[22:23], v[100:101]
	v_fma_f64 v[35:36], v[35:36], s[22:23], -v[102:103]
	v_add_f64 v[75:76], v[78:79], v[75:76]
	v_add_f64 v[78:79], v[82:83], v[80:81]
	v_fma_f64 v[80:81], v[25:26], s[22:23], -v[29:30]
	v_fma_f64 v[82:83], v[27:28], s[22:23], v[31:32]
	v_fma_f64 v[29:30], v[25:26], s[22:23], v[29:30]
	v_fma_f64 v[31:32], v[27:28], s[22:23], -v[31:32]
	v_add_f64 v[5:6], v[33:34], v[5:6]
	v_add_f64 v[7:8], v[35:36], v[7:8]
	v_mul_f64 v[33:34], v[71:72], s[56:57]
	v_mul_f64 v[35:36], v[73:74], s[56:57]
	v_add_f64 v[80:81], v[80:81], v[84:85]
	v_add_f64 v[82:83], v[82:83], v[86:87]
	v_mul_f64 v[84:85], v[71:72], s[34:35]
	v_mul_f64 v[86:87], v[73:74], s[34:35]
	v_add_f64 v[100:101], v[104:105], v[112:113]
	v_add_f64 v[102:103], v[106:107], v[114:115]
	v_fma_f64 v[104:105], v[25:26], s[16:17], -v[33:34]
	v_fma_f64 v[106:107], v[27:28], s[16:17], v[35:36]
	v_fma_f64 v[33:34], v[25:26], s[16:17], v[33:34]
	v_fma_f64 v[35:36], v[27:28], s[16:17], -v[35:36]
	v_add_f64 v[29:30], v[29:30], v[37:38]
	v_add_f64 v[31:32], v[31:32], v[39:40]
	v_fma_f64 v[37:38], v[25:26], s[20:21], -v[84:85]
	v_fma_f64 v[39:40], v[27:28], s[20:21], v[86:87]
	v_add_f64 v[92:93], v[104:105], v[92:93]
	v_add_f64 v[94:95], v[106:107], v[94:95]
	;; [unrolled: 1-line block ×4, first 2 shown]
	v_mul_f64 v[41:42], v[71:72], s[30:31]
	v_mul_f64 v[43:44], v[73:74], s[30:31]
	v_add_f64 v[37:38], v[37:38], v[45:46]
	v_add_f64 v[39:40], v[39:40], v[47:48]
	v_fma_f64 v[45:46], v[25:26], s[20:21], v[84:85]
	v_fma_f64 v[47:48], v[27:28], s[20:21], -v[86:87]
	v_mul_f64 v[84:85], v[71:72], s[62:63]
	v_mul_f64 v[86:87], v[73:74], s[62:63]
	v_fma_f64 v[104:105], v[25:26], s[28:29], -v[41:42]
	v_fma_f64 v[106:107], v[27:28], s[28:29], v[43:44]
	v_fma_f64 v[41:42], v[25:26], s[28:29], v[41:42]
	v_fma_f64 v[43:44], v[27:28], s[28:29], -v[43:44]
	v_add_f64 v[45:46], v[45:46], v[57:58]
	v_add_f64 v[47:48], v[47:48], v[59:60]
	v_fma_f64 v[57:58], v[25:26], s[8:9], -v[84:85]
	v_fma_f64 v[59:60], v[27:28], s[8:9], v[86:87]
	v_add_f64 v[104:105], v[104:105], v[108:109]
	v_add_f64 v[106:107], v[106:107], v[110:111]
	;; [unrolled: 1-line block ×4, first 2 shown]
	v_mul_f64 v[49:50], v[71:72], s[48:49]
	v_mul_f64 v[51:52], v[73:74], s[48:49]
	v_add_f64 v[57:58], v[57:58], v[61:62]
	v_add_f64 v[59:60], v[59:60], v[63:64]
	v_mul_f64 v[61:62], v[71:72], s[40:41]
	v_mul_f64 v[63:64], v[73:74], s[40:41]
	v_fma_f64 v[84:85], v[25:26], s[8:9], v[84:85]
	v_fma_f64 v[86:87], v[27:28], s[8:9], -v[86:87]
	v_fma_f64 v[108:109], v[25:26], s[14:15], -v[49:50]
	v_fma_f64 v[110:111], v[27:28], s[14:15], v[51:52]
	v_fma_f64 v[49:50], v[25:26], s[14:15], v[49:50]
	v_fma_f64 v[51:52], v[27:28], s[14:15], -v[51:52]
	v_fma_f64 v[112:113], v[25:26], s[46:47], -v[61:62]
	v_fma_f64 v[114:115], v[27:28], s[46:47], v[63:64]
	v_mul_f64 v[71:72], v[71:72], s[44:45]
	v_mul_f64 v[73:74], v[73:74], s[44:45]
	v_add_f64 v[84:85], v[84:85], v[88:89]
	v_add_f64 v[86:87], v[86:87], v[90:91]
	;; [unrolled: 1-line block ×6, first 2 shown]
	v_add_f64 v[65:66], v[19:20], -v[23:24]
	v_add_f64 v[67:68], v[17:18], -v[21:22]
	v_add_f64 v[88:89], v[108:109], v[96:97]
	v_add_f64 v[90:91], v[110:111], v[98:99]
	v_fma_f64 v[61:62], v[25:26], s[46:47], v[61:62]
	v_fma_f64 v[63:64], v[27:28], s[46:47], -v[63:64]
	v_add_f64 v[17:18], v[17:18], v[21:22]
	v_add_f64 v[19:20], v[19:20], v[23:24]
	v_mul_f64 v[21:22], v[65:66], s[30:31]
	v_mul_f64 v[23:24], v[67:68], s[30:31]
	v_fma_f64 v[96:97], v[25:26], s[12:13], -v[71:72]
	v_fma_f64 v[98:99], v[27:28], s[12:13], v[73:74]
	v_add_f64 v[61:62], v[61:62], v[75:76]
	v_add_f64 v[63:64], v[63:64], v[78:79]
	v_fma_f64 v[25:26], v[25:26], s[12:13], v[71:72]
	v_fma_f64 v[27:28], v[27:28], s[12:13], -v[73:74]
	v_fma_f64 v[71:72], v[17:18], s[28:29], -v[21:22]
	v_fma_f64 v[73:74], v[19:20], s[28:29], v[23:24]
	v_add_f64 v[75:76], v[96:97], v[100:101]
	v_add_f64 v[78:79], v[98:99], v[102:103]
	v_mul_f64 v[96:97], v[65:66], s[44:45]
	v_mul_f64 v[98:99], v[67:68], s[44:45]
	v_add_f64 v[5:6], v[25:26], v[5:6]
	v_add_f64 v[7:8], v[27:28], v[7:8]
	;; [unrolled: 1-line block ×4, first 2 shown]
	v_fma_f64 v[21:22], v[17:18], s[28:29], v[21:22]
	v_fma_f64 v[23:24], v[19:20], s[28:29], -v[23:24]
	v_fma_f64 v[71:72], v[17:18], s[12:13], -v[96:97]
	v_fma_f64 v[73:74], v[19:20], s[12:13], v[98:99]
	v_mul_f64 v[80:81], v[65:66], s[42:43]
	v_mul_f64 v[82:83], v[67:68], s[42:43]
	v_fma_f64 v[98:99], v[19:20], s[12:13], -v[98:99]
	v_fma_f64 v[96:97], v[17:18], s[12:13], v[96:97]
	v_add_f64 v[21:22], v[21:22], v[29:30]
	v_add_f64 v[23:24], v[23:24], v[31:32]
	;; [unrolled: 1-line block ×4, first 2 shown]
	v_fma_f64 v[71:72], v[17:18], s[8:9], -v[80:81]
	v_fma_f64 v[73:74], v[19:20], s[8:9], v[82:83]
	v_add_f64 v[92:93], v[98:99], v[35:36]
	v_mul_f64 v[35:36], v[65:66], s[60:61]
	v_mul_f64 v[94:95], v[67:68], s[60:61]
	v_fma_f64 v[80:81], v[17:18], s[8:9], v[80:81]
	v_fma_f64 v[82:83], v[19:20], s[8:9], -v[82:83]
	v_add_f64 v[33:34], v[96:97], v[33:34]
	v_add_f64 v[37:38], v[71:72], v[37:38]
	;; [unrolled: 1-line block ×3, first 2 shown]
	v_mul_f64 v[71:72], v[65:66], s[34:35]
	v_mul_f64 v[73:74], v[67:68], s[34:35]
	v_fma_f64 v[96:97], v[17:18], s[22:23], -v[35:36]
	v_fma_f64 v[98:99], v[19:20], s[22:23], v[94:95]
	v_add_f64 v[45:46], v[80:81], v[45:46]
	v_add_f64 v[47:48], v[82:83], v[47:48]
	v_fma_f64 v[35:36], v[17:18], s[22:23], v[35:36]
	v_fma_f64 v[80:81], v[19:20], s[22:23], -v[94:95]
	v_fma_f64 v[82:83], v[17:18], s[20:21], -v[71:72]
	v_fma_f64 v[94:95], v[19:20], s[20:21], v[73:74]
	v_mul_f64 v[100:101], v[65:66], s[40:41]
	v_mul_f64 v[102:103], v[67:68], s[40:41]
	v_add_f64 v[96:97], v[96:97], v[104:105]
	v_add_f64 v[104:105], v[11:12], -v[15:16]
	v_add_f64 v[41:42], v[35:36], v[41:42]
	v_add_f64 v[43:44], v[80:81], v[43:44]
	;; [unrolled: 1-line block ×4, first 2 shown]
	v_fma_f64 v[35:36], v[17:18], s[20:21], v[71:72]
	v_fma_f64 v[57:58], v[19:20], s[20:21], -v[73:74]
	v_fma_f64 v[59:60], v[17:18], s[46:47], -v[100:101]
	v_fma_f64 v[71:72], v[19:20], s[46:47], v[102:103]
	v_mul_f64 v[73:74], v[65:66], s[52:53]
	v_fma_f64 v[94:95], v[17:18], s[46:47], v[100:101]
	v_mul_f64 v[100:101], v[67:68], s[52:53]
	v_fma_f64 v[102:103], v[19:20], s[46:47], -v[102:103]
	v_add_f64 v[84:85], v[35:36], v[84:85]
	v_add_f64 v[86:87], v[57:58], v[86:87]
	;; [unrolled: 1-line block ×4, first 2 shown]
	v_fma_f64 v[35:36], v[17:18], s[14:15], -v[73:74]
	v_add_f64 v[90:91], v[94:95], v[49:50]
	v_fma_f64 v[49:50], v[19:20], s[14:15], v[100:101]
	v_add_f64 v[94:95], v[102:103], v[51:52]
	v_mul_f64 v[51:52], v[65:66], s[18:19]
	v_fma_f64 v[59:60], v[19:20], s[14:15], -v[100:101]
	v_mul_f64 v[65:66], v[67:68], s[18:19]
	v_add_f64 v[100:101], v[9:10], -v[13:14]
	v_fma_f64 v[57:58], v[17:18], s[14:15], v[73:74]
	v_add_f64 v[73:74], v[35:36], v[53:54]
	v_add_f64 v[102:103], v[49:50], v[55:56]
	;; [unrolled: 1-line block ×3, first 2 shown]
	v_fma_f64 v[35:36], v[17:18], s[16:17], -v[51:52]
	v_add_f64 v[112:113], v[9:10], v[13:14]
	v_fma_f64 v[49:50], v[19:20], s[16:17], v[65:66]
	v_mul_f64 v[11:12], v[100:101], s[40:41]
	v_mul_f64 v[9:10], v[104:105], s[40:41]
	v_fma_f64 v[13:14], v[17:18], s[16:17], v[51:52]
	v_fma_f64 v[15:16], v[19:20], s[16:17], -v[65:66]
	v_mul_f64 v[17:18], v[100:101], s[50:51]
	v_add_f64 v[75:76], v[35:36], v[75:76]
	v_add_f64 v[98:99], v[98:99], v[106:107]
	;; [unrolled: 1-line block ×3, first 2 shown]
	v_fma_f64 v[19:20], v[110:111], s[46:47], -v[11:12]
	v_mul_f64 v[49:50], v[104:105], s[50:51]
	v_fma_f64 v[11:12], v[110:111], s[46:47], v[11:12]
	v_fma_f64 v[51:52], v[112:113], s[46:47], v[9:10]
	v_add_f64 v[67:68], v[15:16], v[7:8]
	v_fma_f64 v[7:8], v[112:113], s[46:47], -v[9:10]
	v_fma_f64 v[9:10], v[110:111], s[20:21], -v[17:18]
	v_mul_f64 v[15:16], v[104:105], s[30:31]
	v_add_f64 v[65:66], v[13:14], v[5:6]
	v_fma_f64 v[13:14], v[112:113], s[20:21], v[49:50]
	v_add_f64 v[5:6], v[11:12], v[21:22]
	v_mul_f64 v[11:12], v[100:101], s[30:31]
	v_add_f64 v[106:107], v[57:58], v[61:62]
	v_add_f64 v[108:109], v[59:60], v[63:64]
	;; [unrolled: 1-line block ×3, first 2 shown]
	v_fma_f64 v[9:10], v[110:111], s[20:21], v[17:18]
	v_mul_f64 v[17:18], v[100:101], s[52:53]
	v_fma_f64 v[21:22], v[112:113], s[28:29], v[15:16]
	v_add_f64 v[61:62], v[19:20], v[25:26]
	v_add_f64 v[59:60], v[13:14], v[31:32]
	v_fma_f64 v[13:14], v[112:113], s[20:21], -v[49:50]
	v_fma_f64 v[25:26], v[110:111], s[28:29], v[11:12]
	v_add_f64 v[63:64], v[51:52], v[27:28]
	v_add_f64 v[7:8], v[7:8], v[23:24]
	v_fma_f64 v[19:20], v[110:111], s[28:29], -v[11:12]
	v_mul_f64 v[23:24], v[104:105], s[52:53]
	v_fma_f64 v[27:28], v[110:111], s[14:15], -v[17:18]
	v_add_f64 v[55:56], v[21:22], v[39:40]
	v_mul_f64 v[21:22], v[100:101], s[24:25]
	v_add_f64 v[11:12], v[13:14], v[92:93]
	v_add_f64 v[13:14], v[25:26], v[45:46]
	v_mul_f64 v[25:26], v[104:105], s[24:25]
	v_add_f64 v[53:54], v[19:20], v[37:38]
	v_fma_f64 v[19:20], v[112:113], s[14:15], v[23:24]
	v_add_f64 v[49:50], v[27:28], v[96:97]
	v_fma_f64 v[23:24], v[112:113], s[14:15], -v[23:24]
	v_mul_f64 v[27:28], v[100:101], s[44:45]
	v_fma_f64 v[29:30], v[110:111], s[22:23], -v[21:22]
	v_mul_f64 v[31:32], v[104:105], s[44:45]
	v_add_f64 v[9:10], v[9:10], v[33:34]
	v_fma_f64 v[15:16], v[112:113], s[28:29], -v[15:16]
	v_fma_f64 v[33:34], v[112:113], s[22:23], v[25:26]
	v_fma_f64 v[17:18], v[110:111], s[14:15], v[17:18]
	v_add_f64 v[51:52], v[19:20], v[98:99]
	v_add_f64 v[19:20], v[23:24], v[43:44]
	v_fma_f64 v[23:24], v[112:113], s[22:23], -v[25:26]
	v_fma_f64 v[25:26], v[110:111], s[12:13], -v[27:28]
	v_add_f64 v[45:46], v[29:30], v[80:81]
	v_fma_f64 v[29:30], v[112:113], s[12:13], v[31:32]
	v_mul_f64 v[37:38], v[104:105], s[18:19]
	v_add_f64 v[15:16], v[15:16], v[47:48]
	v_add_f64 v[47:48], v[33:34], v[82:83]
	v_mul_f64 v[33:34], v[100:101], s[18:19]
	v_mul_f64 v[78:79], v[100:101], s[62:63]
	v_add_f64 v[17:18], v[17:18], v[41:42]
	v_add_f64 v[41:42], v[25:26], v[88:89]
	;; [unrolled: 1-line block ×3, first 2 shown]
	v_fma_f64 v[25:26], v[110:111], s[12:13], v[27:28]
	v_fma_f64 v[27:28], v[112:113], s[12:13], -v[31:32]
	v_fma_f64 v[31:32], v[112:113], s[16:17], v[37:38]
	v_fma_f64 v[71:72], v[112:113], s[16:17], -v[37:38]
	v_mul_f64 v[82:83], v[104:105], s[62:63]
	v_fma_f64 v[29:30], v[110:111], s[16:17], -v[33:34]
	v_fma_f64 v[33:34], v[110:111], s[16:17], v[33:34]
	v_fma_f64 v[80:81], v[110:111], s[8:9], -v[78:79]
	v_fma_f64 v[21:22], v[110:111], s[22:23], v[21:22]
	v_add_f64 v[25:26], v[25:26], v[90:91]
	v_add_f64 v[39:40], v[31:32], v[102:103]
	;; [unrolled: 1-line block ×3, first 2 shown]
	v_fma_f64 v[71:72], v[112:113], s[8:9], v[82:83]
	v_add_f64 v[37:38], v[29:30], v[73:74]
	v_add_f64 v[29:30], v[33:34], v[106:107]
	;; [unrolled: 1-line block ×3, first 2 shown]
	v_fma_f64 v[73:74], v[110:111], s[8:9], v[78:79]
	v_fma_f64 v[75:76], v[112:113], s[8:9], -v[82:83]
	v_addc_co_u32_e64 v78, s[8:9], 0, 0, vcc
	v_mul_lo_u32 v80, v78, s0
	v_mul_lo_u32 v81, v69, s1
	v_mad_u64_u32 v[78:79], s[0:1], v69, s0, 0
	s_lshl_b64 s[0:1], s[4:5], 4
	s_add_u32 s3, s10, s0
	v_add3_u32 v79, v79, v81, v80
	v_mul_lo_u32 v69, v0, s2
	s_addc_u32 s4, s11, s1
	s_lshl_b64 s[0:1], s[36:37], 4
	v_add_f64 v[35:36], v[71:72], v[35:36]
	s_add_u32 s0, s3, s0
	v_lshlrev_b64 v[71:72], 4, v[78:79]
	s_addc_u32 s1, s4, s1
	v_add_f64 v[65:66], v[73:74], v[65:66]
	v_mov_b32_e32 v73, s1
	v_add_co_u32_e32 v0, vcc, s0, v71
	v_addc_co_u32_e32 v71, vcc, v73, v72, vcc
	v_lshlrev_b64 v[72:73], 4, v[69:70]
	s_mul_i32 s0, s2, 17
	v_add_co_u32_e32 v72, vcc, v0, v72
	v_addc_co_u32_e32 v73, vcc, v71, v73, vcc
	v_add_u32_e32 v69, s0, v69
	global_store_dwordx4 v[72:73], v[1:4], off
	v_add_f64 v[67:68], v[75:76], v[67:68]
	v_lshlrev_b64 v[1:2], 4, v[69:70]
	v_add_u32_e32 v69, s0, v69
	v_add_co_u32_e32 v1, vcc, v0, v1
	v_addc_co_u32_e32 v2, vcc, v71, v2, vcc
	global_store_dwordx4 v[1:2], v[61:64], off
	v_lshlrev_b64 v[1:2], 4, v[69:70]
	v_add_u32_e32 v69, s0, v69
	v_add_co_u32_e32 v1, vcc, v0, v1
	v_addc_co_u32_e32 v2, vcc, v71, v2, vcc
	global_store_dwordx4 v[1:2], v[57:60], off
	;; [unrolled: 5-line block ×8, first 2 shown]
	v_lshlrev_b64 v[1:2], 4, v[69:70]
	v_add_u32_e32 v69, s0, v69
	v_add_co_u32_e32 v1, vcc, v0, v1
	v_addc_co_u32_e32 v2, vcc, v71, v2, vcc
	v_add_f64 v[27:28], v[27:28], v[94:95]
	global_store_dwordx4 v[1:2], v[65:68], off
	v_lshlrev_b64 v[1:2], 4, v[69:70]
	v_add_u32_e32 v69, s0, v69
	v_add_co_u32_e32 v1, vcc, v0, v1
	v_addc_co_u32_e32 v2, vcc, v71, v2, vcc
	v_add_f64 v[21:22], v[21:22], v[84:85]
	v_add_f64 v[23:24], v[23:24], v[86:87]
	global_store_dwordx4 v[1:2], v[29:32], off
	v_lshlrev_b64 v[1:2], 4, v[69:70]
	v_add_u32_e32 v69, s0, v69
	v_add_co_u32_e32 v1, vcc, v0, v1
	v_addc_co_u32_e32 v2, vcc, v71, v2, vcc
	global_store_dwordx4 v[1:2], v[25:28], off
	v_lshlrev_b64 v[1:2], 4, v[69:70]
	v_add_u32_e32 v69, s0, v69
	v_add_co_u32_e32 v1, vcc, v0, v1
	v_addc_co_u32_e32 v2, vcc, v71, v2, vcc
	;; [unrolled: 5-line block ×5, first 2 shown]
	global_store_dwordx4 v[1:2], v[9:12], off
	v_lshlrev_b64 v[1:2], 4, v[69:70]
	v_add_co_u32_e32 v0, vcc, v0, v1
	v_addc_co_u32_e32 v1, vcc, v71, v2, vcc
	global_store_dwordx4 v[0:1], v[5:8], off
	s_endpgm
	.section	.rodata,"a",@progbits
	.p2align	6, 0x0
	.amdhsa_kernel fft_rtc_fwd_len289_factors_17_17_wgs_119_tpt_17_dp_op_CI_CI_sbrc_xy_z_aligned_dirReg
		.amdhsa_group_segment_fixed_size 0
		.amdhsa_private_segment_fixed_size 0
		.amdhsa_kernarg_size 104
		.amdhsa_user_sgpr_count 6
		.amdhsa_user_sgpr_private_segment_buffer 1
		.amdhsa_user_sgpr_dispatch_ptr 0
		.amdhsa_user_sgpr_queue_ptr 0
		.amdhsa_user_sgpr_kernarg_segment_ptr 1
		.amdhsa_user_sgpr_dispatch_id 0
		.amdhsa_user_sgpr_flat_scratch_init 0
		.amdhsa_user_sgpr_private_segment_size 0
		.amdhsa_uses_dynamic_stack 0
		.amdhsa_system_sgpr_private_segment_wavefront_offset 0
		.amdhsa_system_sgpr_workgroup_id_x 1
		.amdhsa_system_sgpr_workgroup_id_y 0
		.amdhsa_system_sgpr_workgroup_id_z 0
		.amdhsa_system_sgpr_workgroup_info 0
		.amdhsa_system_vgpr_workitem_id 0
		.amdhsa_next_free_vgpr 154
		.amdhsa_next_free_sgpr 66
		.amdhsa_reserve_vcc 1
		.amdhsa_reserve_flat_scratch 0
		.amdhsa_float_round_mode_32 0
		.amdhsa_float_round_mode_16_64 0
		.amdhsa_float_denorm_mode_32 3
		.amdhsa_float_denorm_mode_16_64 3
		.amdhsa_dx10_clamp 1
		.amdhsa_ieee_mode 1
		.amdhsa_fp16_overflow 0
		.amdhsa_exception_fp_ieee_invalid_op 0
		.amdhsa_exception_fp_denorm_src 0
		.amdhsa_exception_fp_ieee_div_zero 0
		.amdhsa_exception_fp_ieee_overflow 0
		.amdhsa_exception_fp_ieee_underflow 0
		.amdhsa_exception_fp_ieee_inexact 0
		.amdhsa_exception_int_div_zero 0
	.end_amdhsa_kernel
	.text
.Lfunc_end0:
	.size	fft_rtc_fwd_len289_factors_17_17_wgs_119_tpt_17_dp_op_CI_CI_sbrc_xy_z_aligned_dirReg, .Lfunc_end0-fft_rtc_fwd_len289_factors_17_17_wgs_119_tpt_17_dp_op_CI_CI_sbrc_xy_z_aligned_dirReg
                                        ; -- End function
	.section	.AMDGPU.csdata,"",@progbits
; Kernel info:
; codeLenInByte = 16192
; NumSgprs: 70
; NumVgprs: 154
; ScratchSize: 0
; MemoryBound: 0
; FloatMode: 240
; IeeeMode: 1
; LDSByteSize: 0 bytes/workgroup (compile time only)
; SGPRBlocks: 8
; VGPRBlocks: 38
; NumSGPRsForWavesPerEU: 70
; NumVGPRsForWavesPerEU: 154
; Occupancy: 1
; WaveLimiterHint : 1
; COMPUTE_PGM_RSRC2:SCRATCH_EN: 0
; COMPUTE_PGM_RSRC2:USER_SGPR: 6
; COMPUTE_PGM_RSRC2:TRAP_HANDLER: 0
; COMPUTE_PGM_RSRC2:TGID_X_EN: 1
; COMPUTE_PGM_RSRC2:TGID_Y_EN: 0
; COMPUTE_PGM_RSRC2:TGID_Z_EN: 0
; COMPUTE_PGM_RSRC2:TIDIG_COMP_CNT: 0
	.type	__hip_cuid_4e4967354486068d,@object ; @__hip_cuid_4e4967354486068d
	.section	.bss,"aw",@nobits
	.globl	__hip_cuid_4e4967354486068d
__hip_cuid_4e4967354486068d:
	.byte	0                               ; 0x0
	.size	__hip_cuid_4e4967354486068d, 1

	.ident	"AMD clang version 19.0.0git (https://github.com/RadeonOpenCompute/llvm-project roc-6.4.0 25133 c7fe45cf4b819c5991fe208aaa96edf142730f1d)"
	.section	".note.GNU-stack","",@progbits
	.addrsig
	.addrsig_sym __hip_cuid_4e4967354486068d
	.amdgpu_metadata
---
amdhsa.kernels:
  - .args:
      - .actual_access:  read_only
        .address_space:  global
        .offset:         0
        .size:           8
        .value_kind:     global_buffer
      - .offset:         8
        .size:           8
        .value_kind:     by_value
      - .actual_access:  read_only
        .address_space:  global
        .offset:         16
        .size:           8
        .value_kind:     global_buffer
      - .actual_access:  read_only
        .address_space:  global
        .offset:         24
        .size:           8
        .value_kind:     global_buffer
      - .actual_access:  read_only
        .address_space:  global
        .offset:         32
        .size:           8
        .value_kind:     global_buffer
      - .offset:         40
        .size:           8
        .value_kind:     by_value
      - .actual_access:  read_only
        .address_space:  global
        .offset:         48
        .size:           8
        .value_kind:     global_buffer
      - .actual_access:  read_only
        .address_space:  global
        .offset:         56
        .size:           8
        .value_kind:     global_buffer
      - .offset:         64
        .size:           4
        .value_kind:     by_value
      - .actual_access:  read_only
        .address_space:  global
        .offset:         72
        .size:           8
        .value_kind:     global_buffer
      - .actual_access:  read_only
        .address_space:  global
        .offset:         80
        .size:           8
        .value_kind:     global_buffer
      - .actual_access:  read_only
        .address_space:  global
        .offset:         88
        .size:           8
        .value_kind:     global_buffer
      - .actual_access:  write_only
        .address_space:  global
        .offset:         96
        .size:           8
        .value_kind:     global_buffer
    .group_segment_fixed_size: 0
    .kernarg_segment_align: 8
    .kernarg_segment_size: 104
    .language:       OpenCL C
    .language_version:
      - 2
      - 0
    .max_flat_workgroup_size: 119
    .name:           fft_rtc_fwd_len289_factors_17_17_wgs_119_tpt_17_dp_op_CI_CI_sbrc_xy_z_aligned_dirReg
    .private_segment_fixed_size: 0
    .sgpr_count:     70
    .sgpr_spill_count: 0
    .symbol:         fft_rtc_fwd_len289_factors_17_17_wgs_119_tpt_17_dp_op_CI_CI_sbrc_xy_z_aligned_dirReg.kd
    .uniform_work_group_size: 1
    .uses_dynamic_stack: false
    .vgpr_count:     154
    .vgpr_spill_count: 0
    .wavefront_size: 64
amdhsa.target:   amdgcn-amd-amdhsa--gfx906
amdhsa.version:
  - 1
  - 2
...

	.end_amdgpu_metadata
